;; amdgpu-corpus repo=ROCm/rocFFT kind=compiled arch=gfx950 opt=O3
	.text
	.amdgcn_target "amdgcn-amd-amdhsa--gfx950"
	.amdhsa_code_object_version 6
	.protected	fft_rtc_back_len208_factors_13_16_wgs_144_tpt_16_half_ip_CI_sbcc_twdbase5_3step_dirReg_intrinsicReadWrite ; -- Begin function fft_rtc_back_len208_factors_13_16_wgs_144_tpt_16_half_ip_CI_sbcc_twdbase5_3step_dirReg_intrinsicReadWrite
	.globl	fft_rtc_back_len208_factors_13_16_wgs_144_tpt_16_half_ip_CI_sbcc_twdbase5_3step_dirReg_intrinsicReadWrite
	.p2align	8
	.type	fft_rtc_back_len208_factors_13_16_wgs_144_tpt_16_half_ip_CI_sbcc_twdbase5_3step_dirReg_intrinsicReadWrite,@function
fft_rtc_back_len208_factors_13_16_wgs_144_tpt_16_half_ip_CI_sbcc_twdbase5_3step_dirReg_intrinsicReadWrite: ; @fft_rtc_back_len208_factors_13_16_wgs_144_tpt_16_half_ip_CI_sbcc_twdbase5_3step_dirReg_intrinsicReadWrite
; %bb.0:
	s_load_dwordx8 s[4:11], s[0:1], 0x8
	s_movk_i32 s3, 0x60
	v_cmp_gt_u32_e32 vcc, s3, v0
	s_and_saveexec_b64 s[12:13], vcc
	s_cbranch_execz .LBB0_2
; %bb.1:
	v_lshlrev_b32_e32 v1, 2, v0
	s_waitcnt lgkmcnt(0)
	global_load_dword v2, v1, s[4:5]
	v_add_u32_e32 v1, 0, v1
	s_waitcnt vmcnt(0)
	ds_write_b32 v1, v2 offset:7488
.LBB0_2:
	s_or_b64 exec, exec, s[12:13]
	s_waitcnt lgkmcnt(0)
	s_load_dwordx2 s[4:5], s[8:9], 0x8
	s_mov_b32 s3, 0
	s_mov_b64 s[24:25], 0
	s_waitcnt lgkmcnt(0)
	s_add_u32 s12, s4, -1
	s_addc_u32 s13, s5, -1
	s_add_u32 s14, 0, 0x71c4fc00
	s_addc_u32 s15, 0, 0x7c
	s_mul_hi_u32 s17, s14, -9
	s_add_i32 s15, s15, 0x1c71c6a0
	s_sub_i32 s17, s17, s14
	s_mul_i32 s20, s15, -9
	s_mul_i32 s16, s14, -9
	s_add_i32 s17, s17, s20
	s_mul_hi_u32 s18, s15, s16
	s_mul_i32 s19, s15, s16
	s_mul_i32 s21, s14, s17
	s_mul_hi_u32 s16, s14, s16
	s_mul_hi_u32 s20, s14, s17
	s_add_u32 s16, s16, s21
	s_addc_u32 s20, 0, s20
	s_add_u32 s16, s16, s19
	s_mul_hi_u32 s21, s15, s17
	s_addc_u32 s16, s20, s18
	s_addc_u32 s18, s21, 0
	s_mul_i32 s17, s15, s17
	s_add_u32 s16, s16, s17
	v_mov_b32_e32 v1, s16
	s_addc_u32 s17, 0, s18
	v_add_co_u32_e32 v1, vcc, s14, v1
	s_cmp_lg_u64 vcc, 0
	s_addc_u32 s14, s15, s17
	v_readfirstlane_b32 s17, v1
	s_mul_i32 s16, s12, s14
	s_mul_hi_u32 s18, s12, s17
	s_mul_hi_u32 s15, s12, s14
	s_add_u32 s16, s18, s16
	s_addc_u32 s15, 0, s15
	s_mul_hi_u32 s19, s13, s17
	s_mul_i32 s17, s13, s17
	s_add_u32 s16, s16, s17
	s_mul_hi_u32 s18, s13, s14
	s_addc_u32 s15, s15, s19
	s_addc_u32 s16, s18, 0
	s_mul_i32 s14, s13, s14
	s_add_u32 s14, s15, s14
	s_addc_u32 s15, 0, s16
	s_add_u32 s16, s14, 1
	s_addc_u32 s17, s15, 0
	s_add_u32 s18, s14, 2
	s_mul_i32 s20, s15, 9
	s_mul_hi_u32 s21, s14, 9
	s_addc_u32 s19, s15, 0
	s_add_i32 s21, s21, s20
	s_mul_i32 s20, s14, 9
	v_mov_b32_e32 v1, s20
	v_sub_co_u32_e32 v1, vcc, s12, v1
	s_cmp_lg_u64 vcc, 0
	s_subb_u32 s12, s13, s21
	v_subrev_co_u32_e32 v2, vcc, 9, v1
	s_cmp_lg_u64 vcc, 0
	s_subb_u32 s13, s12, 0
	v_readfirstlane_b32 s20, v2
	s_cmp_gt_u32 s20, 8
	s_cselect_b32 s20, -1, 0
	s_cmp_eq_u32 s13, 0
	s_cselect_b32 s13, s20, -1
	s_cmp_lg_u32 s13, 0
	s_cselect_b32 s13, s18, s16
	s_cselect_b32 s16, s19, s17
	v_readfirstlane_b32 s17, v1
	s_cmp_gt_u32 s17, 8
	s_cselect_b32 s17, -1, 0
	s_cmp_eq_u32 s12, 0
	s_cselect_b32 s12, s17, -1
	s_cmp_lg_u32 s12, 0
	s_cselect_b32 s13, s13, s14
	s_cselect_b32 s12, s16, s15
	s_add_u32 s20, s13, 1
	s_addc_u32 s21, s12, 0
	v_mov_b64_e32 v[2:3], s[20:21]
	v_cmp_lt_u64_e32 vcc, s[2:3], v[2:3]
	s_cbranch_vccnz .LBB0_4
; %bb.3:
	v_cvt_f32_u32_e32 v1, s20
	s_sub_i32 s12, 0, s20
	s_mov_b32 s25, s3
	v_rcp_iflag_f32_e32 v1, v1
	s_nop 0
	v_mul_f32_e32 v1, 0x4f7ffffe, v1
	v_cvt_u32_f32_e32 v1, v1
	s_nop 0
	v_readfirstlane_b32 s13, v1
	s_mul_i32 s12, s12, s13
	s_mul_hi_u32 s12, s13, s12
	s_add_i32 s13, s13, s12
	s_mul_hi_u32 s12, s2, s13
	s_mul_i32 s14, s12, s20
	s_sub_i32 s14, s2, s14
	s_add_i32 s13, s12, 1
	s_sub_i32 s15, s14, s20
	s_cmp_ge_u32 s14, s20
	s_cselect_b32 s12, s13, s12
	s_cselect_b32 s14, s15, s14
	s_add_i32 s13, s12, 1
	s_cmp_ge_u32 s14, s20
	s_cselect_b32 s24, s13, s12
.LBB0_4:
	s_load_dwordx2 s[16:17], s[0:1], 0x58
	s_load_dwordx2 s[18:19], s[0:1], 0x0
	s_load_dwordx4 s[12:15], s[10:11], 0x0
	s_mul_i32 s0, s24, s21
	s_mul_hi_u32 s1, s24, s20
	s_add_i32 s1, s1, s0
	s_mul_i32 s0, s24, s20
	s_sub_u32 s0, s2, s0
	s_subb_u32 s1, 0, s1
	s_mul_i32 s1, s1, 9
	s_waitcnt lgkmcnt(0)
	s_mul_hi_u32 s13, s0, 9
	s_add_i32 s23, s13, s1
	s_mul_i32 s22, s0, 9
	s_mul_i32 s0, s14, s23
	s_mul_hi_u32 s1, s14, s22
	s_add_i32 s0, s1, s0
	s_mul_i32 s1, s15, s22
	s_add_i32 s15, s0, s1
	v_cmp_lt_u64_e64 s[0:1], s[6:7], 3
	s_mul_i32 s13, s14, s22
	s_and_b64 vcc, exec, s[0:1]
	s_cbranch_vccnz .LBB0_14
; %bb.5:
	s_add_u32 s26, s10, 16
	s_addc_u32 s27, s11, 0
	s_add_u32 s8, s8, 16
	s_addc_u32 s9, s9, 0
	s_mov_b64 s[28:29], 2
	s_mov_b32 s30, 0
	v_mov_b64_e32 v[2:3], s[6:7]
.LBB0_6:                                ; =>This Inner Loop Header: Depth=1
	s_load_dwordx2 s[34:35], s[8:9], 0x0
	s_waitcnt lgkmcnt(0)
	s_or_b64 s[0:1], s[24:25], s[34:35]
	s_mov_b32 s31, s1
	s_cmp_lg_u64 s[30:31], 0
	s_cbranch_scc0 .LBB0_11
; %bb.7:                                ;   in Loop: Header=BB0_6 Depth=1
	v_cvt_f32_u32_e32 v1, s34
	v_cvt_f32_u32_e32 v4, s35
	s_sub_u32 s0, 0, s34
	s_subb_u32 s1, 0, s35
	v_fmac_f32_e32 v1, 0x4f800000, v4
	v_rcp_f32_e32 v1, v1
	s_nop 0
	v_mul_f32_e32 v1, 0x5f7ffffc, v1
	v_mul_f32_e32 v4, 0x2f800000, v1
	v_trunc_f32_e32 v4, v4
	v_fmac_f32_e32 v1, 0xcf800000, v4
	v_cvt_u32_f32_e32 v4, v4
	v_cvt_u32_f32_e32 v1, v1
	v_readfirstlane_b32 s31, v4
	v_readfirstlane_b32 s33, v1
	s_mul_i32 s36, s0, s31
	s_mul_hi_u32 s38, s0, s33
	s_mul_i32 s37, s1, s33
	s_add_i32 s36, s38, s36
	s_mul_i32 s39, s0, s33
	s_add_i32 s36, s36, s37
	s_mul_hi_u32 s37, s33, s36
	s_mul_i32 s38, s33, s36
	s_mul_hi_u32 s33, s33, s39
	s_add_u32 s33, s33, s38
	s_addc_u32 s37, 0, s37
	s_mul_hi_u32 s40, s31, s39
	s_mul_i32 s39, s31, s39
	s_add_u32 s33, s33, s39
	s_mul_hi_u32 s38, s31, s36
	s_addc_u32 s33, s37, s40
	s_addc_u32 s37, s38, 0
	s_mul_i32 s36, s31, s36
	s_add_u32 s33, s33, s36
	s_addc_u32 s36, 0, s37
	v_add_co_u32_e32 v1, vcc, s33, v1
	s_cmp_lg_u64 vcc, 0
	s_addc_u32 s31, s31, s36
	v_readfirstlane_b32 s36, v1
	s_mul_i32 s33, s0, s31
	s_mul_hi_u32 s37, s0, s36
	s_add_i32 s33, s37, s33
	s_mul_i32 s1, s1, s36
	s_add_i32 s33, s33, s1
	s_mul_i32 s0, s0, s36
	s_mul_hi_u32 s37, s31, s0
	s_mul_i32 s38, s31, s0
	s_mul_i32 s40, s36, s33
	s_mul_hi_u32 s0, s36, s0
	s_mul_hi_u32 s39, s36, s33
	s_add_u32 s0, s0, s40
	s_addc_u32 s36, 0, s39
	s_add_u32 s0, s0, s38
	s_mul_hi_u32 s1, s31, s33
	s_addc_u32 s0, s36, s37
	s_addc_u32 s1, s1, 0
	s_mul_i32 s33, s31, s33
	s_add_u32 s0, s0, s33
	s_addc_u32 s1, 0, s1
	v_add_co_u32_e32 v1, vcc, s0, v1
	s_cmp_lg_u64 vcc, 0
	s_addc_u32 s0, s31, s1
	v_readfirstlane_b32 s33, v1
	s_mul_i32 s31, s24, s0
	s_mul_hi_u32 s36, s24, s33
	s_mul_hi_u32 s1, s24, s0
	s_add_u32 s31, s36, s31
	s_addc_u32 s1, 0, s1
	s_mul_hi_u32 s37, s25, s33
	s_mul_i32 s33, s25, s33
	s_add_u32 s31, s31, s33
	s_mul_hi_u32 s36, s25, s0
	s_addc_u32 s1, s1, s37
	s_addc_u32 s31, s36, 0
	s_mul_i32 s0, s25, s0
	s_add_u32 s33, s1, s0
	s_addc_u32 s31, 0, s31
	s_mul_i32 s0, s34, s31
	s_mul_hi_u32 s1, s34, s33
	s_add_i32 s0, s1, s0
	s_mul_i32 s1, s35, s33
	s_add_i32 s36, s0, s1
	s_mul_i32 s1, s34, s33
	v_mov_b32_e32 v1, s1
	s_sub_i32 s0, s25, s36
	v_sub_co_u32_e32 v1, vcc, s24, v1
	s_cmp_lg_u64 vcc, 0
	s_subb_u32 s37, s0, s35
	v_subrev_co_u32_e64 v4, s[0:1], s34, v1
	s_cmp_lg_u64 s[0:1], 0
	s_subb_u32 s0, s37, 0
	s_cmp_ge_u32 s0, s35
	v_readfirstlane_b32 s37, v4
	s_cselect_b32 s1, -1, 0
	s_cmp_ge_u32 s37, s34
	s_cselect_b32 s37, -1, 0
	s_cmp_eq_u32 s0, s35
	s_cselect_b32 s0, s37, s1
	s_add_u32 s1, s33, 1
	s_addc_u32 s37, s31, 0
	s_add_u32 s38, s33, 2
	s_addc_u32 s39, s31, 0
	s_cmp_lg_u32 s0, 0
	s_cselect_b32 s0, s38, s1
	s_cselect_b32 s1, s39, s37
	s_cmp_lg_u64 vcc, 0
	s_subb_u32 s36, s25, s36
	s_cmp_ge_u32 s36, s35
	v_readfirstlane_b32 s38, v1
	s_cselect_b32 s37, -1, 0
	s_cmp_ge_u32 s38, s34
	s_cselect_b32 s38, -1, 0
	s_cmp_eq_u32 s36, s35
	s_cselect_b32 s36, s38, s37
	s_cmp_lg_u32 s36, 0
	s_cselect_b32 s1, s1, s31
	s_cselect_b32 s0, s0, s33
	s_cbranch_execnz .LBB0_9
.LBB0_8:                                ;   in Loop: Header=BB0_6 Depth=1
	v_cvt_f32_u32_e32 v1, s34
	s_sub_i32 s0, 0, s34
	v_rcp_iflag_f32_e32 v1, v1
	s_nop 0
	v_mul_f32_e32 v1, 0x4f7ffffe, v1
	v_cvt_u32_f32_e32 v1, v1
	s_nop 0
	v_readfirstlane_b32 s1, v1
	s_mul_i32 s0, s0, s1
	s_mul_hi_u32 s0, s1, s0
	s_add_i32 s1, s1, s0
	s_mul_hi_u32 s0, s24, s1
	s_mul_i32 s31, s0, s34
	s_sub_i32 s31, s24, s31
	s_add_i32 s1, s0, 1
	s_sub_i32 s33, s31, s34
	s_cmp_ge_u32 s31, s34
	s_cselect_b32 s0, s1, s0
	s_cselect_b32 s31, s33, s31
	s_add_i32 s1, s0, 1
	s_cmp_ge_u32 s31, s34
	s_cselect_b32 s0, s1, s0
	s_mov_b32 s1, s30
.LBB0_9:                                ;   in Loop: Header=BB0_6 Depth=1
	s_mul_i32 s21, s34, s21
	s_mul_hi_u32 s31, s34, s20
	s_add_i32 s21, s31, s21
	s_mul_i32 s31, s35, s20
	s_add_i32 s21, s21, s31
	s_mul_i32 s31, s0, s35
	s_mul_hi_u32 s33, s0, s34
	s_load_dwordx2 s[36:37], s[26:27], 0x0
	s_add_i32 s31, s33, s31
	s_mul_i32 s33, s1, s34
	s_add_i32 s31, s31, s33
	s_mul_i32 s33, s0, s34
	s_sub_u32 s24, s24, s33
	s_subb_u32 s25, s25, s31
	s_waitcnt lgkmcnt(0)
	s_mul_i32 s25, s36, s25
	s_mul_hi_u32 s31, s36, s24
	s_add_i32 s25, s31, s25
	s_mul_i32 s31, s37, s24
	s_add_i32 s25, s25, s31
	s_mul_i32 s24, s36, s24
	s_add_u32 s13, s24, s13
	s_addc_u32 s15, s25, s15
	s_add_u32 s28, s28, 1
	s_addc_u32 s29, s29, 0
	;; [unrolled: 2-line block ×3, first 2 shown]
	s_add_u32 s8, s8, 8
	v_cmp_ge_u64_e32 vcc, s[28:29], v[2:3]
	s_mul_i32 s20, s34, s20
	s_addc_u32 s9, s9, 0
	s_cbranch_vccnz .LBB0_12
; %bb.10:                               ;   in Loop: Header=BB0_6 Depth=1
	s_mov_b64 s[24:25], s[0:1]
	s_branch .LBB0_6
.LBB0_11:                               ;   in Loop: Header=BB0_6 Depth=1
                                        ; implicit-def: $sgpr0_sgpr1
	s_branch .LBB0_8
.LBB0_12:
	v_mov_b64_e32 v[2:3], s[20:21]
	v_cmp_lt_u64_e32 vcc, s[2:3], v[2:3]
	s_mov_b64 s[24:25], 0
	s_cbranch_vccnz .LBB0_14
; %bb.13:
	v_cvt_f32_u32_e32 v1, s20
	s_sub_i32 s0, 0, s20
	v_rcp_iflag_f32_e32 v1, v1
	s_nop 0
	v_mul_f32_e32 v1, 0x4f7ffffe, v1
	v_cvt_u32_f32_e32 v1, v1
	s_nop 0
	v_readfirstlane_b32 s1, v1
	s_mul_i32 s0, s0, s1
	s_mul_hi_u32 s0, s1, s0
	s_add_i32 s1, s1, s0
	s_mul_hi_u32 s0, s2, s1
	s_mul_i32 s3, s0, s20
	s_sub_i32 s2, s2, s3
	s_add_i32 s1, s0, 1
	s_sub_i32 s3, s2, s20
	s_cmp_ge_u32 s2, s20
	s_cselect_b32 s0, s1, s0
	s_cselect_b32 s2, s3, s2
	s_add_i32 s1, s0, 1
	s_cmp_ge_u32 s2, s20
	s_cselect_b32 s24, s1, s0
.LBB0_14:
	s_lshl_b64 s[0:1], s[6:7], 3
	s_add_u32 s0, s10, s0
	s_addc_u32 s1, s11, s1
	s_load_dwordx2 s[0:1], s[0:1], 0x0
	s_waitcnt lgkmcnt(0)
	s_mov_b32 s1, 0x1c71c71d
	v_mul_hi_u32 v1, v0, s1
	v_mul_u32_u24_e32 v2, 9, v1
	v_sub_u32_e32 v2, v0, v2
	s_mul_i32 s0, s0, s24
	s_add_u32 s6, s0, s13
	s_add_u32 s0, s22, 9
	v_mov_b32_e32 v3, 0
	s_addc_u32 s1, s23, 0
	v_mov_b64_e32 v[4:5], s[4:5]
	v_lshl_add_u64 v[20:21], s[22:23], 0, v[2:3]
	v_cmp_le_u64_e32 vcc, s[0:1], v[4:5]
	v_mad_u64_u32 v[18:19], s[0:1], s14, v2, 0
	v_cmp_gt_u64_e64 s[0:1], s[4:5], v[20:21]
	s_or_b64 s[2:3], vcc, s[0:1]
	v_mov_b32_e32 v4, 0
	s_and_saveexec_b64 s[4:5], s[2:3]
	s_cbranch_execz .LBB0_16
; %bb.15:
	v_mul_lo_u32 v4, s12, v1
	v_add3_u32 v4, s6, v18, v4
	v_mov_b32_e32 v5, 0
	v_lshl_add_u64 v[4:5], v[4:5], 2, s[16:17]
	global_load_dword v4, v[4:5], off
.LBB0_16:
	s_or_b64 exec, exec, s[4:5]
	s_and_saveexec_b64 s[4:5], s[2:3]
	s_cbranch_execz .LBB0_18
; %bb.17:
	v_add_u32_e32 v3, 16, v1
	v_mul_lo_u32 v3, s12, v3
	v_add3_u32 v6, s6, v18, v3
	v_mov_b32_e32 v7, 0
	v_lshl_add_u64 v[6:7], v[6:7], 2, s[16:17]
	global_load_dword v3, v[6:7], off
.LBB0_18:
	s_or_b64 exec, exec, s[4:5]
	v_mov_b32_e32 v9, 0
	v_mov_b32_e32 v11, 0
	s_and_saveexec_b64 s[4:5], s[2:3]
	s_cbranch_execz .LBB0_20
; %bb.19:
	v_or_b32_e32 v5, 32, v1
	v_mul_lo_u32 v5, s12, v5
	v_add3_u32 v6, s6, v18, v5
	v_mov_b32_e32 v7, 0
	v_lshl_add_u64 v[6:7], v[6:7], 2, s[16:17]
	global_load_dword v11, v[6:7], off
.LBB0_20:
	s_or_b64 exec, exec, s[4:5]
	s_and_saveexec_b64 s[4:5], s[2:3]
	s_cbranch_execz .LBB0_22
; %bb.21:
	v_add_u32_e32 v5, 48, v1
	v_mul_lo_u32 v5, s12, v5
	v_add3_u32 v6, s6, v18, v5
	v_mov_b32_e32 v7, 0
	v_lshl_add_u64 v[6:7], v[6:7], 2, s[16:17]
	global_load_dword v9, v[6:7], off
.LBB0_22:
	s_or_b64 exec, exec, s[4:5]
	v_mov_b32_e32 v7, 0
	v_mov_b32_e32 v8, 0
	s_and_saveexec_b64 s[4:5], s[2:3]
	s_cbranch_execz .LBB0_24
; %bb.23:
	v_or_b32_e32 v5, 64, v1
	v_mul_lo_u32 v5, s12, v5
	v_add3_u32 v12, s6, v18, v5
	v_mov_b32_e32 v13, 0
	v_lshl_add_u64 v[12:13], v[12:13], 2, s[16:17]
	global_load_dword v8, v[12:13], off
.LBB0_24:
	;; [unrolled: 24-line block ×4, first 2 shown]
	s_or_b64 exec, exec, s[4:5]
	s_and_saveexec_b64 s[4:5], s[2:3]
	s_cbranch_execz .LBB0_34
; %bb.33:
	v_add_u32_e32 v12, 0x90, v1
	v_mul_lo_u32 v12, s12, v12
	v_add3_u32 v12, s6, v18, v12
	v_mov_b32_e32 v13, 0
	v_lshl_add_u64 v[12:13], v[12:13], 2, s[16:17]
	global_load_dword v12, v[12:13], off
.LBB0_34:
	s_or_b64 exec, exec, s[4:5]
	v_mov_b32_e32 v14, 0
	v_mov_b32_e32 v13, 0
	s_and_saveexec_b64 s[4:5], s[2:3]
	s_cbranch_execnz .LBB0_43
; %bb.35:
	s_or_b64 exec, exec, s[4:5]
	s_and_saveexec_b64 s[4:5], s[2:3]
	s_cbranch_execnz .LBB0_44
.LBB0_36:
	s_or_b64 exec, exec, s[4:5]
	v_mov_b32_e32 v15, 0
	s_and_saveexec_b64 s[4:5], s[2:3]
	s_cbranch_execz .LBB0_38
.LBB0_37:
	v_or_b32_e32 v15, 0xc0, v1
	v_mul_lo_u32 v15, s12, v15
	v_add3_u32 v16, s6, v18, v15
	v_mov_b32_e32 v17, 0
	v_lshl_add_u64 v[16:17], v[16:17], 2, s[16:17]
	global_load_dword v15, v[16:17], off
.LBB0_38:
	s_or_b64 exec, exec, s[4:5]
	s_waitcnt vmcnt(0)
	v_pk_add_f16 v16, v4, v3
	s_mov_b32 s14, 0xb770
	v_pk_add_f16 v16, v16, v11
	s_movk_i32 s2, 0x3b15
	v_pk_add_f16 v16, v16, v9
	s_mov_b32 s24, 0xba95
	v_pk_add_f16 v16, v16, v8
	v_pk_add_f16 v43, v11, v14
	;; [unrolled: 1-line block ×3, first 2 shown]
	v_pk_add_f16 v11, v11, v14 neg_lo:[0,1] neg_hi:[0,1]
	v_pk_add_f16 v16, v16, v6
	s_movk_i32 s3, 0x388b
	v_pk_add_f16 v16, v16, v5
	s_movk_i32 s5, 0x3770
	v_pk_add_f16 v16, v16, v10
	s_mov_b32 s11, 0xbb7b
	v_pk_add_f16 v16, v16, v12
	s_movk_i32 s8, 0x3a95
	v_pk_add_f16 v16, v16, v13
	s_mov_b32 s10, 0xb5ac
	v_pk_add_f16 v16, v16, v14
	v_mul_f16_sdwa v14, v11, s24 dst_sel:DWORD dst_unused:UNUSED_PAD src0_sel:WORD_1 src1_sel:DWORD
	v_pk_add_f16 v22, v16, v15
	v_pk_add_f16 v16, v3, v15
	v_pk_add_f16 v3, v3, v15 neg_lo:[0,1] neg_hi:[0,1]
	v_mul_f16_sdwa v19, v16, s2 dst_sel:DWORD dst_unused:UNUSED_PAD src0_sel:WORD_1 src1_sel:DWORD
	v_mul_f16_sdwa v15, v3, s14 dst_sel:DWORD dst_unused:UNUSED_PAD src0_sel:WORD_1 src1_sel:DWORD
	v_fma_f16 v17, v16, s2, v15
	v_add_f16_e32 v17, v17, v4
	v_fma_f16 v15, v16, s2, -v15
	v_fma_f16 v38, v43, s3, v14
	v_fma_f16 v21, v3, s5, v19
	v_add_f16_e32 v15, v15, v4
	v_fma_f16 v19, v3, s14, v19
	v_add_f16_e32 v17, v38, v17
	v_mul_f16_sdwa v38, v43, s3 dst_sel:DWORD dst_unused:UNUSED_PAD src0_sel:WORD_1 src1_sel:DWORD
	v_fma_f16 v14, v43, s3, -v14
	v_add_f16_sdwa v19, v19, v4 dst_sel:DWORD dst_unused:UNUSED_PAD src0_sel:DWORD src1_sel:WORD_1
	v_mul_f16_sdwa v23, v3, s24 dst_sel:DWORD dst_unused:UNUSED_PAD src0_sel:WORD_1 src1_sel:DWORD
	v_add_f16_e32 v14, v14, v15
	v_fma_f16 v15, v11, s24, v38
	v_fma_f16 v24, v16, s3, v23
	v_add_f16_e32 v15, v15, v19
	v_mul_f16_sdwa v19, v11, s11 dst_sel:DWORD dst_unused:UNUSED_PAD src0_sel:WORD_1 src1_sel:DWORD
	v_add_f16_e32 v24, v24, v4
	v_mul_f16_sdwa v25, v16, s3 dst_sel:DWORD dst_unused:UNUSED_PAD src0_sel:WORD_1 src1_sel:DWORD
	v_fma_f16 v23, v16, s3, -v23
	v_fma_f16 v39, v11, s8, v38
	v_fma_f16 v38, v43, s10, v19
	;; [unrolled: 1-line block ×3, first 2 shown]
	v_add_f16_e32 v23, v23, v4
	v_fma_f16 v25, v3, s24, v25
	s_mov_b32 s25, 0xbbf1
	v_add_f16_e32 v24, v38, v24
	v_mul_f16_sdwa v38, v43, s10 dst_sel:DWORD dst_unused:UNUSED_PAD src0_sel:WORD_1 src1_sel:DWORD
	v_fma_f16 v19, v43, s10, -v19
	v_add_f16_sdwa v25, v25, v4 dst_sel:DWORD dst_unused:UNUSED_PAD src0_sel:DWORD src1_sel:WORD_1
	v_mul_f16_sdwa v27, v3, s25 dst_sel:DWORD dst_unused:UNUSED_PAD src0_sel:WORD_1 src1_sel:DWORD
	s_movk_i32 s4, 0x2fb7
	v_add_f16_e32 v19, v19, v23
	v_fma_f16 v23, v11, s11, v38
	s_mov_b32 s22, 0xb3a8
	v_add_f16_sdwa v21, v21, v4 dst_sel:DWORD dst_unused:UNUSED_PAD src0_sel:DWORD src1_sel:WORD_1
	v_fma_f16 v28, v16, s4, v27
	s_movk_i32 s20, 0x3b7b
	v_add_f16_e32 v23, v23, v25
	v_mul_f16_sdwa v25, v11, s22 dst_sel:DWORD dst_unused:UNUSED_PAD src0_sel:WORD_1 src1_sel:DWORD
	s_mov_b32 s21, 0xbbc4
	v_add_f16_e32 v28, v28, v4
	v_mul_f16_sdwa v29, v16, s4 dst_sel:DWORD dst_unused:UNUSED_PAD src0_sel:WORD_1 src1_sel:DWORD
	s_movk_i32 s9, 0x3bf1
	v_fma_f16 v27, v16, s4, -v27
	v_add_f16_e32 v21, v39, v21
	v_fma_f16 v39, v11, s20, v38
	v_fma_f16 v38, v43, s21, v25
	;; [unrolled: 1-line block ×3, first 2 shown]
	v_add_f16_e32 v27, v27, v4
	v_fma_f16 v29, v3, s25, v29
	v_add_f16_e32 v28, v38, v28
	v_mul_f16_sdwa v38, v43, s21 dst_sel:DWORD dst_unused:UNUSED_PAD src0_sel:WORD_1 src1_sel:DWORD
	v_fma_f16 v25, v43, s21, -v25
	v_add_f16_sdwa v29, v29, v4 dst_sel:DWORD dst_unused:UNUSED_PAD src0_sel:DWORD src1_sel:WORD_1
	v_mul_f16_sdwa v31, v3, s11 dst_sel:DWORD dst_unused:UNUSED_PAD src0_sel:WORD_1 src1_sel:DWORD
	s_mov_b32 s13, 0xb94ebb7b
	s_movk_i32 s23, 0x394e
	v_add_f16_e32 v25, v25, v27
	v_fma_f16 v27, v11, s22, v38
	v_add_f16_sdwa v26, v26, v4 dst_sel:DWORD dst_unused:UNUSED_PAD src0_sel:DWORD src1_sel:WORD_1
	v_fma_f16 v32, v16, s10, v31
	v_pk_mul_f16 v33, v3, s13
	v_fma_f16 v31, v16, s10, -v31
	s_mov_b32 s13, 0xb9fd
	s_movk_i32 s26, 0x33a8
	v_add_f16_e32 v27, v27, v29
	v_mul_f16_sdwa v29, v11, s23 dst_sel:DWORD dst_unused:UNUSED_PAD src0_sel:WORD_1 src1_sel:DWORD
	v_add_f16_e32 v31, v31, v4
	v_mul_f16_sdwa v34, v16, s13 dst_sel:DWORD dst_unused:UNUSED_PAD src0_sel:WORD_1 src1_sel:DWORD
	s_mov_b32 s15, 0xb94e
	v_add_f16_e32 v26, v39, v26
	v_fma_f16 v39, v11, s26, v38
	v_fma_f16 v38, v43, s13, v29
	v_fma_f16 v29, v43, s13, -v29
	v_add_f16_sdwa v30, v30, v4 dst_sel:DWORD dst_unused:UNUSED_PAD src0_sel:DWORD src1_sel:WORD_1
	v_add_f16_e32 v32, v32, v4
	s_mov_b32 s7, 0xb5acb9fd
	v_fma_f16 v35, v3, s23, v34
	v_fma_f16 v34, v3, s15, v34
	s_mov_b32 s28, 0x3bf1394e
	v_add_f16_e32 v29, v29, v31
	v_mul_f16_sdwa v31, v43, s4 dst_sel:DWORD dst_unused:UNUSED_PAD src0_sel:WORD_1 src1_sel:DWORD
	v_pk_fma_f16 v37, v16, s7, v33 op_sel:[0,0,1] op_sel_hi:[1,1,0] neg_lo:[0,0,1] neg_hi:[0,0,1]
	v_pk_fma_f16 v33, v16, s7, v33 op_sel:[0,0,1] op_sel_hi:[1,1,0]
	s_mov_b32 s7, 0xffff
	v_add_f16_sdwa v34, v34, v4 dst_sel:DWORD dst_unused:UNUSED_PAD src0_sel:DWORD src1_sel:WORD_1
	v_add_f16_e32 v30, v39, v30
	v_add_f16_e32 v32, v38, v32
	s_mov_b32 s27, 0xb9fd2fb7
	v_pk_mul_f16 v38, v11, s28
	v_fma_f16 v39, v11, s25, v31
	v_fma_f16 v31, v11, s9, v31
	v_bfi_b32 v36, s7, v37, v33
	v_pk_fma_f16 v40, v43, s27, v38 op_sel:[0,0,1] op_sel_hi:[1,1,0] neg_lo:[0,0,1] neg_hi:[0,0,1]
	v_pk_fma_f16 v41, v43, s27, v38 op_sel:[0,0,1] op_sel_hi:[1,1,0]
	v_add_f16_e32 v31, v31, v34
	v_pk_add_f16 v34, v9, v13
	v_pk_add_f16 v9, v9, v13 neg_lo:[0,1] neg_hi:[0,1]
	v_pk_add_f16 v36, v36, v4
	v_bfi_b32 v38, s7, v40, v41
	v_mul_f16_sdwa v13, v9, s25 dst_sel:DWORD dst_unused:UNUSED_PAD src0_sel:WORD_1 src1_sel:DWORD
	v_pk_add_f16 v36, v38, v36
	v_fma_f16 v38, v34, s4, v13
	v_add_f16_e32 v17, v38, v17
	v_mul_f16_sdwa v38, v34, s4 dst_sel:DWORD dst_unused:UNUSED_PAD src0_sel:WORD_1 src1_sel:DWORD
	v_fma_f16 v13, v34, s4, -v13
	v_add_f16_e32 v13, v13, v14
	v_fma_f16 v14, v9, s25, v38
	v_add_f16_sdwa v35, v35, v4 dst_sel:DWORD dst_unused:UNUSED_PAD src0_sel:DWORD src1_sel:WORD_1
	v_add_f16_e32 v14, v14, v15
	v_mul_f16_sdwa v15, v9, s22 dst_sel:DWORD dst_unused:UNUSED_PAD src0_sel:WORD_1 src1_sel:DWORD
	v_add_f16_e32 v35, v39, v35
	v_fma_f16 v39, v9, s9, v38
	v_fma_f16 v38, v34, s21, v15
	v_add_f16_e32 v24, v38, v24
	v_mul_f16_sdwa v38, v34, s21 dst_sel:DWORD dst_unused:UNUSED_PAD src0_sel:WORD_1 src1_sel:DWORD
	v_fma_f16 v15, v34, s21, -v15
	v_add_f16_e32 v15, v15, v19
	v_fma_f16 v19, v9, s22, v38
	v_add_f16_e32 v19, v19, v23
	v_mul_f16_sdwa v23, v9, s20 dst_sel:DWORD dst_unused:UNUSED_PAD src0_sel:WORD_1 src1_sel:DWORD
	v_add_f16_e32 v21, v39, v21
	v_fma_f16 v39, v9, s26, v38
	v_fma_f16 v38, v34, s10, v23
	v_add_f16_e32 v28, v38, v28
	v_mul_f16_sdwa v38, v34, s10 dst_sel:DWORD dst_unused:UNUSED_PAD src0_sel:WORD_1 src1_sel:DWORD
	v_fma_f16 v23, v34, s10, -v23
	v_add_f16_e32 v23, v23, v25
	v_fma_f16 v25, v9, s20, v38
	v_add_f16_e32 v25, v25, v27
	v_mul_f16_sdwa v27, v9, s5 dst_sel:DWORD dst_unused:UNUSED_PAD src0_sel:WORD_1 src1_sel:DWORD
	v_add_f16_e32 v26, v39, v26
	v_fma_f16 v39, v9, s11, v38
	v_fma_f16 v38, v34, s2, v27
	v_fma_f16 v27, v34, s2, -v27
	v_add_f16_e32 v27, v27, v29
	v_mul_f16_sdwa v29, v34, s3 dst_sel:DWORD dst_unused:UNUSED_PAD src0_sel:WORD_1 src1_sel:DWORD
	v_pk_add_f16 v45, v8, v12
	v_pk_add_f16 v8, v8, v12 neg_lo:[0,1] neg_hi:[0,1]
	v_add_f16_e32 v30, v39, v30
	v_fma_f16 v39, v9, s8, v29
	v_fma_f16 v29, v9, s24, v29
	v_mul_f16_sdwa v12, v8, s11 dst_sel:DWORD dst_unused:UNUSED_PAD src0_sel:WORD_1 src1_sel:DWORD
	s_mov_b32 s28, 0xba953770
	v_add_f16_e32 v29, v29, v31
	v_fma_f16 v31, v45, s10, v12
	v_add_f16_e32 v32, v38, v32
	s_mov_b32 s27, 0x3b15388b
	v_pk_mul_f16 v38, v9, s28
	v_add_f16_e32 v17, v31, v17
	v_mul_f16_sdwa v31, v45, s10 dst_sel:DWORD dst_unused:UNUSED_PAD src0_sel:WORD_1 src1_sel:DWORD
	v_fma_f16 v12, v45, s10, -v12
	v_pk_fma_f16 v42, v34, s27, v38 op_sel:[0,0,1] op_sel_hi:[1,1,0] neg_lo:[0,0,1] neg_hi:[0,0,1]
	v_pk_fma_f16 v44, v34, s27, v38 op_sel:[0,0,1] op_sel_hi:[1,1,0]
	v_add_f16_e32 v12, v12, v13
	v_fma_f16 v13, v8, s11, v31
	v_bfi_b32 v38, s7, v42, v44
	v_add_f16_e32 v13, v13, v14
	v_mul_f16_sdwa v14, v8, s23 dst_sel:DWORD dst_unused:UNUSED_PAD src0_sel:WORD_1 src1_sel:DWORD
	v_pk_add_f16 v36, v38, v36
	v_fma_f16 v38, v8, s20, v31
	v_fma_f16 v31, v45, s13, v14
	v_add_f16_e32 v24, v31, v24
	v_mul_f16_sdwa v31, v45, s13 dst_sel:DWORD dst_unused:UNUSED_PAD src0_sel:WORD_1 src1_sel:DWORD
	v_fma_f16 v14, v45, s13, -v14
	v_add_f16_e32 v14, v14, v15
	v_fma_f16 v15, v8, s23, v31
	v_add_f16_e32 v15, v15, v19
	v_mul_f16_sdwa v19, v8, s5 dst_sel:DWORD dst_unused:UNUSED_PAD src0_sel:WORD_1 src1_sel:DWORD
	v_add_f16_e32 v21, v38, v21
	v_fma_f16 v38, v8, s15, v31
	v_fma_f16 v31, v45, s2, v19
	v_add_f16_e32 v28, v31, v28
	v_mul_f16_sdwa v31, v45, s2 dst_sel:DWORD dst_unused:UNUSED_PAD src0_sel:WORD_1 src1_sel:DWORD
	v_fma_f16 v19, v45, s2, -v19
	v_add_f16_e32 v19, v19, v23
	v_fma_f16 v23, v8, s5, v31
	v_add_f16_e32 v23, v23, v25
	v_mul_f16_sdwa v25, v8, s25 dst_sel:DWORD dst_unused:UNUSED_PAD src0_sel:WORD_1 src1_sel:DWORD
	v_add_f16_e32 v26, v38, v26
	v_fma_f16 v38, v8, s14, v31
	v_fma_f16 v31, v45, s4, v25
	v_fma_f16 v25, v45, s4, -v25
	s_mov_b32 s28, 0x33a8bbf1
	v_add_f16_e32 v25, v25, v27
	v_mul_f16_sdwa v27, v45, s21 dst_sel:DWORD dst_unused:UNUSED_PAD src0_sel:WORD_1 src1_sel:DWORD
	v_add_f16_e32 v30, v38, v30
	v_add_f16_e32 v31, v31, v32
	s_mov_b32 s27, 0x2fb7bbc4
	v_pk_mul_f16 v32, v8, s28
	v_fma_f16 v38, v8, s22, v27
	v_fma_f16 v27, v8, s26, v27
	v_add_f16_e32 v35, v39, v35
	v_pk_fma_f16 v49, v45, s27, v32 op_sel:[0,0,1] op_sel_hi:[1,1,0] neg_lo:[0,0,1] neg_hi:[0,0,1]
	v_pk_fma_f16 v32, v45, s27, v32 op_sel:[0,0,1] op_sel_hi:[1,1,0]
	v_add_f16_e32 v27, v27, v29
	v_pk_add_f16 v29, v7, v10
	v_pk_add_f16 v7, v7, v10 neg_lo:[0,1] neg_hi:[0,1]
	v_add_f16_e32 v35, v38, v35
	v_bfi_b32 v38, s7, v49, v32
	v_mul_f16_sdwa v10, v7, s15 dst_sel:DWORD dst_unused:UNUSED_PAD src0_sel:WORD_1 src1_sel:DWORD
	v_pk_add_f16 v36, v38, v36
	v_fma_f16 v38, v29, s13, v10
	v_add_f16_e32 v17, v38, v17
	v_mul_f16_sdwa v38, v29, s13 dst_sel:DWORD dst_unused:UNUSED_PAD src0_sel:WORD_1 src1_sel:DWORD
	v_fma_f16 v10, v29, s13, -v10
	v_add_f16_e32 v10, v10, v12
	v_fma_f16 v12, v7, s15, v38
	v_add_f16_e32 v12, v12, v13
	v_mul_f16_sdwa v13, v7, s9 dst_sel:DWORD dst_unused:UNUSED_PAD src0_sel:WORD_1 src1_sel:DWORD
	v_fma_f16 v39, v7, s23, v38
	v_fma_f16 v38, v29, s4, v13
	v_add_f16_e32 v21, v39, v21
	v_add_f16_e32 v39, v38, v24
	v_mul_f16_sdwa v24, v29, s4 dst_sel:DWORD dst_unused:UNUSED_PAD src0_sel:WORD_1 src1_sel:DWORD
	v_fma_f16 v13, v29, s4, -v13
	v_add_f16_e32 v13, v13, v14
	v_fma_f16 v14, v7, s9, v24
	v_add_f16_e32 v14, v14, v15
	v_mul_f16_sdwa v15, v7, s24 dst_sel:DWORD dst_unused:UNUSED_PAD src0_sel:WORD_1 src1_sel:DWORD
	v_fma_f16 v38, v7, s25, v24
	v_fma_f16 v24, v29, s3, v15
	v_add_f16_e32 v28, v24, v28
	v_mul_f16_sdwa v24, v29, s3 dst_sel:DWORD dst_unused:UNUSED_PAD src0_sel:WORD_1 src1_sel:DWORD
	v_fma_f16 v15, v29, s3, -v15
	v_add_f16_e32 v15, v15, v19
	v_fma_f16 v19, v7, s24, v24
	v_add_f16_e32 v19, v19, v23
	v_mul_f16_sdwa v23, v7, s26 dst_sel:DWORD dst_unused:UNUSED_PAD src0_sel:WORD_1 src1_sel:DWORD
	v_add_f16_e32 v46, v38, v26
	v_fma_f16 v26, v7, s8, v24
	v_fma_f16 v24, v29, s21, v23
	v_fma_f16 v23, v29, s21, -v23
	s_mov_b32 s25, 0x377033a8
	v_add_f16_e32 v25, v23, v25
	v_mul_f16_sdwa v23, v29, s2 dst_sel:DWORD dst_unused:UNUSED_PAD src0_sel:WORD_1 src1_sel:DWORD
	v_pk_add_f16 v55, v6, v5
	v_pk_add_f16 v5, v6, v5 neg_lo:[0,1] neg_hi:[0,1]
	v_add_f16_e32 v30, v26, v30
	v_add_f16_e32 v50, v24, v31
	s_mov_b32 s24, 0xbbc43b15
	v_pk_mul_f16 v24, v7, s25
	v_fma_f16 v26, v7, s14, v23
	v_fma_f16 v23, v7, s5, v23
	v_mul_f16_sdwa v6, v5, s22 dst_sel:DWORD dst_unused:UNUSED_PAD src0_sel:WORD_1 src1_sel:DWORD
	v_pk_fma_f16 v51, v29, s24, v24 op_sel:[0,0,1] op_sel_hi:[1,1,0] neg_lo:[0,0,1] neg_hi:[0,0,1]
	v_pk_fma_f16 v52, v29, s24, v24 op_sel:[0,0,1] op_sel_hi:[1,1,0]
	v_add_f16_e32 v54, v23, v27
	v_fma_f16 v23, v55, s21, v6
	v_bfi_b32 v24, s7, v51, v52
	v_add_f16_e32 v23, v23, v17
	v_mul_f16_sdwa v17, v55, s21 dst_sel:DWORD dst_unused:UNUSED_PAD src0_sel:WORD_1 src1_sel:DWORD
	v_pk_add_f16 v53, v24, v36
	v_fma_f16 v24, v5, s26, v17
	v_fma_f16 v6, v55, s21, -v6
	v_add_f16_e32 v38, v24, v21
	v_add_f16_e32 v24, v6, v10
	v_fma_f16 v6, v5, s22, v17
	v_add_f16_e32 v36, v6, v12
	v_mul_f16_sdwa v6, v5, s5 dst_sel:DWORD dst_unused:UNUSED_PAD src0_sel:WORD_1 src1_sel:DWORD
	v_fma_f16 v10, v55, s2, v6
	v_add_f16_e32 v35, v26, v35
	v_add_f16_e32 v26, v10, v39
	v_mul_f16_sdwa v10, v55, s2 dst_sel:DWORD dst_unused:UNUSED_PAD src0_sel:WORD_1 src1_sel:DWORD
	v_fma_f16 v6, v55, s2, -v6
	v_add_f16_e32 v31, v6, v13
	v_fma_f16 v6, v5, s5, v10
	v_add_f16_e32 v39, v6, v14
	v_mul_f16_sdwa v6, v5, s15 dst_sel:DWORD dst_unused:UNUSED_PAD src0_sel:WORD_1 src1_sel:DWORD
	v_fma_f16 v12, v5, s14, v10
	v_fma_f16 v10, v55, s13, v6
	v_add_f16_e32 v27, v10, v28
	v_mul_f16_sdwa v10, v55, s13 dst_sel:DWORD dst_unused:UNUSED_PAD src0_sel:WORD_1 src1_sel:DWORD
	v_add_f16_e32 v46, v12, v46
	v_fma_f16 v12, v5, s23, v10
	v_fma_f16 v6, v55, s13, -v6
	v_add_f16_e32 v48, v12, v30
	v_add_f16_e32 v30, v6, v15
	v_fma_f16 v6, v5, s15, v10
	v_add_f16_e32 v47, v6, v19
	v_mul_f16_sdwa v6, v5, s8 dst_sel:DWORD dst_unused:UNUSED_PAD src0_sel:WORD_1 src1_sel:DWORD
	v_fma_f16 v10, v55, s3, v6
	v_fma_f16 v6, v55, s3, -v6
	v_add_f16_e32 v17, v6, v25
	v_bfi_b32 v6, s7, v33, v37
	v_pk_add_f16 v6, v6, v4
	v_bfi_b32 v12, s7, v41, v40
	v_pk_add_f16 v6, v12, v6
	v_bfi_b32 v12, s7, v44, v42
	s_mov_b32 s23, 0xbb7b3a95
	v_pk_add_f16 v6, v12, v6
	v_bfi_b32 v12, s7, v32, v49
	v_add_f16_e32 v28, v10, v50
	s_mov_b32 s14, 0x388bb5ac
	v_pk_mul_f16 v10, v5, s23
	v_pk_add_f16 v6, v12, v6
	v_bfi_b32 v12, s7, v52, v51
	v_pk_add_f16 v6, v12, v6
	v_pk_fma_f16 v12, v55, s14, v10 op_sel:[0,0,1] op_sel_hi:[1,1,0]
	v_pk_fma_f16 v10, v55, s14, v10 op_sel:[0,0,1] op_sel_hi:[1,1,0] neg_lo:[0,0,1] neg_hi:[0,0,1]
	v_pk_mul_f16 v3, v3, s22 op_sel_hi:[1,0]
	v_bfi_b32 v13, s7, v12, v10
	v_pk_add_f16 v40, v13, v6
	v_mul_f16_sdwa v6, v55, s10 dst_sel:DWORD dst_unused:UNUSED_PAD src0_sel:WORD_1 src1_sel:DWORD
	v_fma_f16 v13, v5, s20, v6
	v_fma_f16 v6, v5, s11, v6
	v_add_f16_e32 v37, v6, v54
	v_pk_fma_f16 v6, v16, s21, v3 op_sel:[0,0,1] op_sel_hi:[1,0,0]
	v_pk_fma_f16 v3, v16, s21, v3 op_sel:[0,0,1] op_sel_hi:[1,0,0] neg_lo:[0,0,1] neg_hi:[0,0,1]
	v_bfi_b32 v10, s7, v10, v12
	v_pk_add_f16 v6, v6, v4
	v_pk_add_f16 v3, v3, v4
	v_pk_mul_f16 v4, v11, s5 op_sel_hi:[1,0]
	v_pk_add_f16 v42, v10, v53
	v_pk_fma_f16 v10, v43, s2, v4 op_sel:[0,0,1] op_sel_hi:[1,0,0]
	v_pk_fma_f16 v4, v43, s2, v4 op_sel:[0,0,1] op_sel_hi:[1,0,0] neg_lo:[0,0,1] neg_hi:[0,0,1]
	v_pk_add_f16 v6, v10, v6
	v_pk_add_f16 v3, v4, v3
	v_pk_mul_f16 v4, v9, s15 op_sel_hi:[1,0]
	s_movk_i32 s2, 0x1d4
	v_pk_fma_f16 v9, v34, s13, v4 op_sel:[0,0,1] op_sel_hi:[1,0,0]
	v_pk_fma_f16 v4, v34, s13, v4 op_sel:[0,0,1] op_sel_hi:[1,0,0] neg_lo:[0,0,1] neg_hi:[0,0,1]
	v_pk_add_f16 v6, v9, v6
	v_pk_add_f16 v3, v4, v3
	v_pk_mul_f16 v4, v8, s8 op_sel_hi:[1,0]
	v_add_f16_e32 v41, v13, v35
	v_pk_fma_f16 v8, v45, s3, v4 op_sel:[0,0,1] op_sel_hi:[1,0,0]
	v_pk_fma_f16 v4, v45, s3, v4 op_sel:[0,0,1] op_sel_hi:[1,0,0] neg_lo:[0,0,1] neg_hi:[0,0,1]
	v_pk_add_f16 v6, v8, v6
	v_pk_add_f16 v3, v4, v3
	v_pk_mul_f16 v4, v7, s11 op_sel_hi:[1,0]
	s_movk_i32 s8, 0x75
	v_pk_fma_f16 v7, v29, s10, v4 op_sel:[0,0,1] op_sel_hi:[1,0,0]
	v_pk_fma_f16 v4, v29, s10, v4 op_sel:[0,0,1] op_sel_hi:[1,0,0] neg_lo:[0,0,1] neg_hi:[0,0,1]
	v_pk_add_f16 v6, v7, v6
	v_pk_add_f16 v3, v4, v3
	v_pk_mul_f16 v4, v5, s9 op_sel_hi:[1,0]
                                        ; implicit-def: $vgpr49
                                        ; implicit-def: $vgpr43
                                        ; implicit-def: $vgpr34
                                        ; implicit-def: $vgpr50
	s_nop 0
	v_pk_fma_f16 v5, v55, s4, v4 op_sel:[0,0,1] op_sel_hi:[1,0,0]
	v_pk_fma_f16 v4, v55, s4, v4 op_sel:[0,0,1] op_sel_hi:[1,0,0] neg_lo:[0,0,1] neg_hi:[0,0,1]
	v_pk_add_f16 v32, v5, v6
	v_pk_add_f16 v29, v4, v3
	v_mad_u32_u24 v3, v1, s2, 0
	v_lshl_add_u32 v4, v2, 2, v3
	v_pack_b32_f16 v5, v23, v38
	ds_write2_b32 v4, v22, v5 offset1:9
	v_pack_b32_f16 v5, v26, v46
	v_pack_b32_f16 v6, v27, v48
	ds_write2_b32 v4, v5, v6 offset0:18 offset1:27
	v_bfi_b32 v5, s7, v28, v40
	v_pack_b32_f16 v6, v40, v41
	ds_write2_b32 v4, v5, v6 offset0:36 offset1:45
	v_bfi_b32 v5, s7, v32, v29
	v_bfi_b32 v6, s7, v29, v32
	ds_write2_b32 v4, v5, v6 offset0:54 offset1:63
	v_pack_b32_f16 v5, v42, v37
	v_bfi_b32 v6, s7, v17, v42
	ds_write2_b32 v4, v5, v6 offset0:72 offset1:81
	v_pack_b32_f16 v5, v30, v47
	v_pack_b32_f16 v6, v31, v39
	v_lshrrev_b32_e32 v33, 16, v32
	ds_write2_b32 v4, v5, v6 offset0:90 offset1:99
	v_pack_b32_f16 v5, v24, v36
	v_cmp_gt_u32_e64 s[2:3], s8, v0
	ds_write_b32 v4, v5 offset:432
	s_waitcnt lgkmcnt(0)
	s_barrier
	s_and_saveexec_b64 s[4:5], s[2:3]
	s_cbranch_execz .LBB0_40
; %bb.39:
	v_mul_i32_i24_e32 v4, 0xfffffe50, v1
	v_lshlrev_b32_e32 v2, 2, v2
	v_add3_u32 v2, v3, v4, v2
	v_add_u32_e32 v3, 0x200, v2
	ds_read2_b32 v[26:27], v3 offset0:106 offset1:223
	v_add_u32_e32 v3, 0xe00, v2
	ds_read2_b32 v[16:17], v3 offset0:40 offset1:157
	;; [unrolled: 2-line block ×4, first 2 shown]
	v_add_u32_e32 v3, 0x1200, v2
	ds_read2_b32 v[22:23], v2 offset1:117
	ds_read2_b32 v[30:31], v3 offset0:18 offset1:135
	v_add_u32_e32 v3, 0x1400, v2
	v_add_u32_e32 v2, 0x1800, v2
	ds_read2_b32 v[24:25], v3 offset0:124 offset1:241
	ds_read2_b32 v[34:35], v2 offset0:102 offset1:219
	s_waitcnt lgkmcnt(6)
	v_lshrrev_b32_e32 v37, 16, v16
	s_waitcnt lgkmcnt(2)
	v_lshrrev_b32_e32 v47, 16, v30
	v_lshrrev_b32_e32 v39, 16, v31
	s_waitcnt lgkmcnt(1)
	v_lshrrev_b32_e32 v36, 16, v24
	;; [unrolled: 3-line block ×3, first 2 shown]
	v_lshrrev_b32_e32 v50, 16, v35
	v_lshrrev_b32_e32 v38, 16, v23
	v_lshrrev_b32_e32 v46, 16, v26
	v_lshrrev_b32_e32 v48, 16, v27
	v_bfi_b32 v40, s7, v29, v28
	v_lshrrev_b32_e32 v41, 16, v29
	v_bfi_b32 v29, s7, v33, v32
	v_lshrrev_b32_e32 v33, 16, v33
	v_bfi_b32 v42, s7, v16, v17
.LBB0_40:
	s_or_b64 exec, exec, s[4:5]
	s_movk_i32 s2, 0x74
	v_cmp_lt_u32_e64 s[2:3], s2, v0
	v_cmp_gt_u32_e64 s[4:5], s8, v0
	v_cndmask_b32_e64 v3, 0, 1, s[0:1]
	s_or_b64 vcc, s[2:3], vcc
	v_cndmask_b32_e64 v2, 0, 1, s[4:5]
	v_cndmask_b32_e32 v2, v3, v2, vcc
	v_and_b32_e32 v2, 1, v2
	v_cmp_eq_u32_e32 vcc, 1, v2
	s_and_saveexec_b64 s[0:1], vcc
	s_cbranch_execz .LBB0_42
; %bb.41:
	s_mov_b32 s0, 0x13b13b14
	v_mul_hi_u32 v2, v1, s0
	v_mul_u32_u24_e32 v2, 13, v2
	v_sub_u32_e32 v1, v1, v2
	v_mul_u32_u24_e32 v2, 15, v1
	v_lshlrev_b32_e32 v19, 2, v2
	global_load_dwordx4 v[10:13], v19, s[18:19] offset:16
	global_load_dwordx3 v[14:16], v19, s[18:19] offset:48
	global_load_dwordx4 v[6:9], v19, s[18:19]
	global_load_dwordx4 v[2:5], v19, s[18:19] offset:32
	v_add_u32_e32 v21, 0xc3, v1
	v_mul_lo_u32 v21, v21, v20
	v_mul_lo_u32 v19, v20, -13
	v_lshrrev_b32_e32 v45, 8, v21
	v_lshrrev_b32_e32 v54, 3, v21
	s_add_i32 s0, 0, 0x1d40
	v_and_b32_e32 v53, 31, v21
	v_add_u32_e32 v21, v21, v19
	v_and_b32_e32 v45, 0x7c, v45
	v_and_b32_e32 v54, 0x7c, v54
	v_lshl_add_u32 v53, v53, 2, 0
	v_lshrrev_b32_e32 v55, 8, v21
	v_and_b32_e32 v56, 31, v21
	v_lshrrev_b32_e32 v57, 3, v21
	v_add_u32_e32 v58, v21, v19
	v_add_u32_e32 v21, s0, v45
	;; [unrolled: 1-line block ×3, first 2 shown]
	ds_read_b32 v53, v53 offset:7488
	ds_read_b32 v45, v45 offset:128
	v_and_b32_e32 v54, 0x7c, v55
	v_lshl_add_u32 v55, v56, 2, 0
	v_and_b32_e32 v56, 0x7c, v57
	v_lshrrev_b32_e32 v57, 8, v58
	v_and_b32_e32 v59, 31, v58
	v_and_b32_e32 v57, 0x7c, v57
	v_add_u32_e32 v54, s0, v54
	v_add_u32_e32 v56, s0, v56
	v_lshl_add_u32 v59, v59, 2, 0
	v_add_u32_e32 v57, s0, v57
	ds_read_b32 v56, v56 offset:128
	ds_read_b32 v59, v59 offset:7488
	;; [unrolled: 1-line block ×6, first 2 shown]
	s_waitcnt lgkmcnt(7)
	v_lshrrev_b32_e32 v21, 16, v53
	v_lshrrev_b32_e32 v44, 16, v29
	s_waitcnt lgkmcnt(6)
	v_mul_f16_sdwa v61, v53, v45 dst_sel:DWORD dst_unused:UNUSED_PAD src0_sel:DWORD src1_sel:WORD_1
	v_mul_f16_sdwa v62, v21, v45 dst_sel:DWORD dst_unused:UNUSED_PAD src0_sel:DWORD src1_sel:WORD_1
	v_lshrrev_b32_e32 v51, 16, v42
	v_fma_f16 v61, v21, v45, v61
	v_fma_f16 v53, v53, v45, -v62
	v_lshrrev_b32_e32 v52, 16, v40
	s_movk_i32 s1, 0x39a8
	s_mov_b32 s2, 0xb9a8
	s_movk_i32 s5, 0x3b64
	s_mov_b32 s3, 0xb61f
	;; [unrolled: 2-line block ×3, first 2 shown]
	s_waitcnt vmcnt(3)
	v_mul_f16_sdwa v21, v44, v11 dst_sel:DWORD dst_unused:UNUSED_PAD src0_sel:DWORD src1_sel:WORD_1
	v_mul_f16_sdwa v62, v33, v12 dst_sel:DWORD dst_unused:UNUSED_PAD src0_sel:DWORD src1_sel:WORD_1
	;; [unrolled: 1-line block ×8, first 2 shown]
	s_waitcnt vmcnt(2)
	v_mul_f16_sdwa v70, v50, v16 dst_sel:DWORD dst_unused:UNUSED_PAD src0_sel:DWORD src1_sel:WORD_1
	v_fma_f16 v21, v32, v11, v21
	v_fma_f16 v29, v29, v12, v62
	v_fma_f16 v12, v33, v12, -v63
	s_waitcnt vmcnt(0)
	v_mul_f16_sdwa v63, v51, v2 dst_sel:DWORD dst_unused:UNUSED_PAD src0_sel:DWORD src1_sel:WORD_1
	v_fma_f16 v32, v40, v10, v64
	v_mul_f16_sdwa v64, v17, v2 dst_sel:DWORD dst_unused:UNUSED_PAD src0_sel:DWORD src1_sel:WORD_1
	v_fma_f16 v33, v41, v10, -v65
	v_mul_f16_sdwa v10, v26, v7 dst_sel:DWORD dst_unused:UNUSED_PAD src0_sel:DWORD src1_sel:WORD_1
	v_mul_f16_sdwa v68, v43, v15 dst_sel:DWORD dst_unused:UNUSED_PAD src0_sel:DWORD src1_sel:WORD_1
	v_mul_f16_sdwa v71, v35, v16 dst_sel:DWORD dst_unused:UNUSED_PAD src0_sel:DWORD src1_sel:WORD_1
	v_mul_f16_sdwa v72, v25, v14 dst_sel:DWORD dst_unused:UNUSED_PAD src0_sel:DWORD src1_sel:WORD_1
	v_fma_f16 v11, v44, v11, -v45
	v_mul_f16_sdwa v73, v49, v14 dst_sel:DWORD dst_unused:UNUSED_PAD src0_sel:DWORD src1_sel:WORD_1
	v_fma_f16 v45, v37, v13, -v66
	v_fma_f16 v37, v42, v13, v67
	v_fma_f16 v40, v35, v16, v70
	;; [unrolled: 1-line block ×3, first 2 shown]
	v_fma_f16 v10, v46, v7, -v10
	v_mul_f16_sdwa v13, v46, v7 dst_sel:DWORD dst_unused:UNUSED_PAD src0_sel:DWORD src1_sel:WORD_1
	v_fma_f16 v46, v51, v2, -v64
	v_mul_f16_sdwa v2, v48, v8 dst_sel:DWORD dst_unused:UNUSED_PAD src0_sel:DWORD src1_sel:WORD_1
	v_mul_f16_sdwa v69, v34, v15 dst_sel:DWORD dst_unused:UNUSED_PAD src0_sel:DWORD src1_sel:WORD_1
	v_fma_f16 v44, v34, v15, v68
	v_fma_f16 v34, v49, v14, -v72
	v_fma_f16 v42, v25, v14, v73
	v_fma_f16 v14, v26, v7, v13
	v_fma_f16 v13, v27, v8, v2
	v_mul_f16_sdwa v2, v27, v8 dst_sel:DWORD dst_unused:UNUSED_PAD src0_sel:DWORD src1_sel:WORD_1
	v_mul_f16_sdwa v7, v30, v3 dst_sel:DWORD dst_unused:UNUSED_PAD src0_sel:DWORD src1_sel:WORD_1
	v_fma_f16 v8, v48, v8, -v2
	v_mul_f16_sdwa v2, v39, v4 dst_sel:DWORD dst_unused:UNUSED_PAD src0_sel:DWORD src1_sel:WORD_1
	v_fma_f16 v41, v50, v16, -v71
	v_fma_f16 v50, v47, v3, -v7
	v_mul_f16_sdwa v7, v47, v3 dst_sel:DWORD dst_unused:UNUSED_PAD src0_sel:DWORD src1_sel:WORD_1
	v_fma_f16 v47, v31, v4, v2
	v_mul_f16_sdwa v2, v31, v4 dst_sel:DWORD dst_unused:UNUSED_PAD src0_sel:DWORD src1_sel:WORD_1
	v_fma_f16 v48, v39, v4, -v2
	v_mul_f16_sdwa v2, v23, v6 dst_sel:DWORD dst_unused:UNUSED_PAD src0_sel:DWORD src1_sel:WORD_1
	v_fma_f16 v25, v38, v6, -v2
	v_mul_f16_sdwa v2, v38, v6 dst_sel:DWORD dst_unused:UNUSED_PAD src0_sel:DWORD src1_sel:WORD_1
	v_fma_f16 v16, v23, v6, v2
	v_mul_f16_sdwa v2, v28, v9 dst_sel:DWORD dst_unused:UNUSED_PAD src0_sel:DWORD src1_sel:WORD_1
	v_fma_f16 v31, v52, v9, -v2
	v_mul_f16_sdwa v2, v24, v5 dst_sel:DWORD dst_unused:UNUSED_PAD src0_sel:DWORD src1_sel:WORD_1
	v_fma_f16 v49, v30, v3, v7
	v_mul_f16_sdwa v3, v36, v5 dst_sel:DWORD dst_unused:UNUSED_PAD src0_sel:DWORD src1_sel:WORD_1
	v_fma_f16 v39, v36, v5, -v2
	s_waitcnt lgkmcnt(0)
	v_mul_f16_sdwa v2, v53, v60 dst_sel:DWORD dst_unused:UNUSED_PAD src0_sel:DWORD src1_sel:WORD_1
	v_fma_f16 v51, v24, v5, v3
	v_mul_f16_sdwa v3, v61, v60 dst_sel:DWORD dst_unused:UNUSED_PAD src0_sel:DWORD src1_sel:WORD_1
	v_fma_f16 v36, v60, v61, v2
	v_lshrrev_b32_e32 v2, 16, v55
	v_mul_f16_sdwa v4, v55, v56 dst_sel:DWORD dst_unused:UNUSED_PAD src0_sel:DWORD src1_sel:WORD_1
	v_fma_f16 v38, v60, v53, -v3
	v_mul_f16_sdwa v3, v2, v56 dst_sel:DWORD dst_unused:UNUSED_PAD src0_sel:DWORD src1_sel:WORD_1
	v_fma_f16 v2, v2, v56, v4
	v_mul_f16_sdwa v62, v52, v9 dst_sel:DWORD dst_unused:UNUSED_PAD src0_sel:DWORD src1_sel:WORD_1
	v_fma_f16 v3, v55, v56, -v3
	v_mul_f16_sdwa v4, v2, v54 dst_sel:DWORD dst_unused:UNUSED_PAD src0_sel:DWORD src1_sel:WORD_1
	v_fma_f16 v43, v43, v15, -v69
	v_fma_f16 v15, v28, v9, v62
	v_fma_f16 v9, v54, v3, -v4
	v_add_u32_e32 v4, v58, v19
	v_mul_f16_sdwa v3, v3, v54 dst_sel:DWORD dst_unused:UNUSED_PAD src0_sel:DWORD src1_sel:WORD_1
	v_lshrrev_b32_e32 v5, 8, v4
	v_and_b32_e32 v6, 31, v4
	v_lshrrev_b32_e32 v7, 3, v4
	v_add_u32_e32 v4, v4, v19
	v_fma_f16 v17, v54, v2, v3
	v_lshrrev_b32_e32 v3, 3, v58
	v_lshrrev_b32_e32 v23, 8, v4
	;; [unrolled: 1-line block ×3, first 2 shown]
	v_add_u32_e32 v27, v4, v19
	v_and_b32_e32 v3, 0x7c, v3
	v_and_b32_e32 v5, 0x7c, v5
	;; [unrolled: 1-line block ×5, first 2 shown]
	v_lshrrev_b32_e32 v4, 8, v27
	v_add_u32_e32 v3, s0, v3
	v_add_u32_e32 v5, s0, v5
	v_lshl_add_u32 v6, v6, 2, 0
	v_and_b32_e32 v7, 0x7c, v7
	v_add_u32_e32 v23, s0, v23
	v_lshl_add_u32 v24, v24, 2, 0
	v_add_u32_e32 v26, s0, v26
	v_and_b32_e32 v4, 0x7c, v4
	v_lshrrev_b32_e32 v2, 16, v59
	v_add_u32_e32 v7, s0, v7
	v_add_u32_e32 v4, s0, v4
	ds_read_b32 v3, v3 offset:128
	ds_read_b32 v5, v5 offset:256
	;; [unrolled: 1-line block ×8, first 2 shown]
	s_waitcnt lgkmcnt(7)
	v_mul_f16_sdwa v6, v59, v3 dst_sel:DWORD dst_unused:UNUSED_PAD src0_sel:DWORD src1_sel:WORD_1
	v_mul_f16_sdwa v4, v2, v3 dst_sel:DWORD dst_unused:UNUSED_PAD src0_sel:DWORD src1_sel:WORD_1
	v_fma_f16 v2, v2, v3, v6
	v_fma_f16 v4, v59, v3, -v4
	v_mul_f16_sdwa v3, v2, v57 dst_sel:DWORD dst_unused:UNUSED_PAD src0_sel:DWORD src1_sel:WORD_1
	v_fma_f16 v6, v57, v4, -v3
	v_mul_f16_sdwa v3, v4, v57 dst_sel:DWORD dst_unused:UNUSED_PAD src0_sel:DWORD src1_sel:WORD_1
	v_fma_f16 v7, v57, v2, v3
	s_waitcnt lgkmcnt(5)
	v_lshrrev_b32_e32 v2, 16, v28
	s_waitcnt lgkmcnt(4)
	v_mul_f16_sdwa v3, v2, v30 dst_sel:DWORD dst_unused:UNUSED_PAD src0_sel:DWORD src1_sel:WORD_1
	v_fma_f16 v4, v28, v30, -v3
	v_mul_f16_sdwa v3, v28, v30 dst_sel:DWORD dst_unused:UNUSED_PAD src0_sel:DWORD src1_sel:WORD_1
	v_fma_f16 v2, v2, v30, v3
	v_mul_f16_sdwa v3, v2, v5 dst_sel:DWORD dst_unused:UNUSED_PAD src0_sel:DWORD src1_sel:WORD_1
	v_fma_f16 v3, v5, v4, -v3
	v_mul_f16_sdwa v4, v4, v5 dst_sel:DWORD dst_unused:UNUSED_PAD src0_sel:DWORD src1_sel:WORD_1
	v_fma_f16 v5, v5, v2, v4
	s_waitcnt lgkmcnt(2)
	v_lshrrev_b32_e32 v2, 16, v24
	s_waitcnt lgkmcnt(1)
	v_mul_f16_sdwa v4, v2, v26 dst_sel:DWORD dst_unused:UNUSED_PAD src0_sel:DWORD src1_sel:WORD_1
	v_fma_f16 v4, v24, v26, -v4
	v_mul_f16_sdwa v24, v24, v26 dst_sel:DWORD dst_unused:UNUSED_PAD src0_sel:DWORD src1_sel:WORD_1
	v_fma_f16 v24, v2, v26, v24
	v_mul_f16_sdwa v2, v24, v23 dst_sel:DWORD dst_unused:UNUSED_PAD src0_sel:DWORD src1_sel:WORD_1
	v_add_u32_e32 v26, v27, v19
	v_fma_f16 v2, v23, v4, -v2
	v_mul_f16_sdwa v4, v4, v23 dst_sel:DWORD dst_unused:UNUSED_PAD src0_sel:DWORD src1_sel:WORD_1
	v_add_u32_e32 v53, v26, v19
	v_fma_f16 v4, v23, v24, v4
	v_and_b32_e32 v23, 31, v27
	v_lshrrev_b32_e32 v24, 3, v27
	v_lshrrev_b32_e32 v27, 8, v26
	v_and_b32_e32 v28, 31, v26
	v_lshrrev_b32_e32 v30, 3, v26
	v_lshrrev_b32_e32 v26, 8, v53
	v_lshrrev_b32_e32 v55, 3, v53
	v_and_b32_e32 v24, 0x7c, v24
	v_and_b32_e32 v27, 0x7c, v27
	;; [unrolled: 1-line block ×5, first 2 shown]
	v_lshl_add_u32 v23, v23, 2, 0
	v_add_u32_e32 v24, s0, v24
	v_add_u32_e32 v27, s0, v27
	v_lshl_add_u32 v28, v28, 2, 0
	v_and_b32_e32 v30, 0x7c, v30
	v_add_u32_e32 v26, s0, v26
	v_lshl_add_u32 v54, v54, 2, 0
	v_add_u32_e32 v55, s0, v55
	v_add_u32_e32 v30, s0, v30
	ds_read_b32 v23, v23 offset:7488
	ds_read_b32 v24, v24 offset:128
	;; [unrolled: 1-line block ×8, first 2 shown]
	s_waitcnt lgkmcnt(7)
	v_lshrrev_b32_e32 v26, 16, v23
	s_waitcnt lgkmcnt(6)
	v_mul_f16_sdwa v30, v26, v24 dst_sel:DWORD dst_unused:UNUSED_PAD src0_sel:DWORD src1_sel:WORD_1
	v_fma_f16 v30, v23, v24, -v30
	v_mul_f16_sdwa v23, v23, v24 dst_sel:DWORD dst_unused:UNUSED_PAD src0_sel:DWORD src1_sel:WORD_1
	v_fma_f16 v23, v26, v24, v23
	v_mul_f16_sdwa v24, v23, v52 dst_sel:DWORD dst_unused:UNUSED_PAD src0_sel:DWORD src1_sel:WORD_1
	v_fma_f16 v26, v52, v30, -v24
	v_mul_f16_sdwa v24, v30, v52 dst_sel:DWORD dst_unused:UNUSED_PAD src0_sel:DWORD src1_sel:WORD_1
	v_fma_f16 v30, v52, v23, v24
	s_waitcnt lgkmcnt(4)
	v_lshrrev_b32_e32 v23, 16, v28
	s_waitcnt lgkmcnt(3)
	v_mul_f16_sdwa v24, v23, v56 dst_sel:DWORD dst_unused:UNUSED_PAD src0_sel:DWORD src1_sel:WORD_1
	v_fma_f16 v52, v28, v56, -v24
	v_mul_f16_sdwa v24, v28, v56 dst_sel:DWORD dst_unused:UNUSED_PAD src0_sel:DWORD src1_sel:WORD_1
	v_fma_f16 v23, v23, v56, v24
	v_mul_f16_sdwa v24, v23, v27 dst_sel:DWORD dst_unused:UNUSED_PAD src0_sel:DWORD src1_sel:WORD_1
	v_mul_f16_sdwa v28, v52, v27 dst_sel:DWORD dst_unused:UNUSED_PAD src0_sel:DWORD src1_sel:WORD_1
	v_fma_f16 v24, v27, v52, -v24
	v_fma_f16 v27, v27, v23, v28
	s_waitcnt lgkmcnt(1)
	v_lshrrev_b32_e32 v23, 16, v54
	s_waitcnt lgkmcnt(0)
	v_mul_f16_sdwa v52, v54, v55 dst_sel:DWORD dst_unused:UNUSED_PAD src0_sel:DWORD src1_sel:WORD_1
	v_mul_f16_sdwa v28, v23, v55 dst_sel:DWORD dst_unused:UNUSED_PAD src0_sel:DWORD src1_sel:WORD_1
	v_fma_f16 v52, v23, v55, v52
	v_fma_f16 v28, v54, v55, -v28
	v_mul_f16_sdwa v23, v52, v57 dst_sel:DWORD dst_unused:UNUSED_PAD src0_sel:DWORD src1_sel:WORD_1
	v_fma_f16 v23, v57, v28, -v23
	v_mul_f16_sdwa v28, v28, v57 dst_sel:DWORD dst_unused:UNUSED_PAD src0_sel:DWORD src1_sel:WORD_1
	v_fma_f16 v28, v57, v52, v28
	v_add_u32_e32 v52, v53, v19
	v_lshrrev_b32_e32 v54, 3, v52
	v_and_b32_e32 v53, 31, v52
	v_and_b32_e32 v54, 0x7c, v54
	v_lshrrev_b32_e32 v55, 8, v52
	v_add_u32_e32 v52, v52, v19
	v_lshl_add_u32 v53, v53, 2, 0
	v_add_u32_e32 v54, s0, v54
	v_add_u32_e32 v58, v52, v19
	ds_read_b32 v53, v53 offset:7488
	ds_read_b32 v54, v54 offset:128
	v_lshrrev_b32_e32 v56, 3, v52
	v_lshrrev_b32_e32 v57, 8, v52
	;; [unrolled: 1-line block ×3, first 2 shown]
	v_and_b32_e32 v55, 0x7c, v55
	v_and_b32_e32 v56, 0x7c, v56
	;; [unrolled: 1-line block ×4, first 2 shown]
	v_add_u32_e32 v55, s0, v55
	v_add_u32_e32 v56, s0, v56
	v_add_u32_e32 v57, s0, v57
	v_add_u32_e32 v59, s0, v59
	ds_read_b32 v56, v56 offset:128
	ds_read_b32 v59, v59 offset:256
	;; [unrolled: 1-line block ×4, first 2 shown]
	s_waitcnt lgkmcnt(5)
	v_lshrrev_b32_e32 v60, 16, v53
	s_waitcnt lgkmcnt(4)
	v_mul_f16_sdwa v61, v60, v54 dst_sel:DWORD dst_unused:UNUSED_PAD src0_sel:DWORD src1_sel:WORD_1
	v_fma_f16 v61, v53, v54, -v61
	v_mul_f16_sdwa v53, v53, v54 dst_sel:DWORD dst_unused:UNUSED_PAD src0_sel:DWORD src1_sel:WORD_1
	v_fma_f16 v53, v60, v54, v53
	s_waitcnt lgkmcnt(0)
	v_mul_f16_sdwa v54, v53, v55 dst_sel:DWORD dst_unused:UNUSED_PAD src0_sel:DWORD src1_sel:WORD_1
	v_mul_f16_sdwa v60, v61, v55 dst_sel:DWORD dst_unused:UNUSED_PAD src0_sel:DWORD src1_sel:WORD_1
	v_fma_f16 v54, v55, v61, -v54
	v_fma_f16 v53, v55, v53, v60
	v_lshrrev_b32_e32 v55, 16, v22
	v_sub_f16_e32 v45, v55, v45
	v_sub_f16_e32 v51, v15, v51
	;; [unrolled: 1-line block ×18, first 2 shown]
	v_fma_f16 v62, v61, s1, v60
	v_add_f16_e32 v63, v49, v43
	v_fma_f16 v66, v65, s1, v64
	v_add_f16_e32 v67, v47, v41
	v_add_f16_e32 v70, v68, v69
	v_fma_f16 v62, v63, s2, v62
	v_fma_f16 v66, v67, s2, v66
	;; [unrolled: 1-line block ×3, first 2 shown]
	v_sub_f16_e32 v37, v22, v37
	v_sub_f16_e32 v39, v31, v39
	v_fma_f16 v71, v65, s1, v34
	v_fma_f16 v34, v66, s5, v62
	v_add_f16_e32 v73, v37, v39
	v_fma_f16 v72, v71, s3, v34
	v_fma_f16 v34, v63, s1, v73
	;; [unrolled: 1-line block ×5, first 2 shown]
	v_mul_f16_e32 v34, v75, v36
	v_mul_f16_e32 v35, v72, v36
	v_fma_f16 v34, v72, v38, -v34
	v_fma_f16 v35, v75, v38, v35
	v_fma_f16 v38, v74, 2.0, -v75
	v_fma_f16 v36, v62, 2.0, -v72
	v_mul_f16_e32 v72, v38, v53
	v_fma_f16 v72, v36, v54, -v72
	v_mul_f16_e32 v36, v36, v53
	v_fma_f16 v36, v38, v54, v36
	v_and_b32_e32 v38, 31, v52
	v_lshl_add_u32 v38, v38, 2, 0
	ds_read_b32 v38, v38 offset:7488
	v_fma_f16 v31, v31, 2.0, -v39
	v_fma_f16 v21, v21, 2.0, -v44
	;; [unrolled: 1-line block ×4, first 2 shown]
	s_waitcnt lgkmcnt(0)
	v_lshrrev_b32_e32 v52, 16, v38
	v_fma_f16 v32, v32, 2.0, -v42
	v_fma_f16 v12, v12, 2.0, -v41
	;; [unrolled: 1-line block ×12, first 2 shown]
	v_mul_f16_sdwa v53, v52, v56 dst_sel:DWORD dst_unused:UNUSED_PAD src0_sel:DWORD src1_sel:WORD_1
	v_sub_f16_e32 v31, v39, v31
	v_sub_f16_e32 v21, v14, v21
	;; [unrolled: 1-line block ×8, first 2 shown]
	v_fma_f16 v53, v38, v56, -v53
	v_mul_f16_sdwa v38, v38, v56 dst_sel:DWORD dst_unused:UNUSED_PAD src0_sel:DWORD src1_sel:WORD_1
	v_sub_f16_e32 v40, v31, v21
	v_sub_f16_e32 v41, v33, v29
	v_add_f16_e32 v43, v32, v12
	v_add_f16_e32 v44, v15, v11
	v_fma_f16 v38, v52, v56, v38
	v_fma_f16 v42, v41, s1, v40
	;; [unrolled: 1-line block ×3, first 2 shown]
	v_mul_f16_sdwa v52, v38, v57 dst_sel:DWORD dst_unused:UNUSED_PAD src0_sel:DWORD src1_sel:WORD_1
	v_fma_f16 v42, v43, s2, v42
	v_fma_f16 v51, v41, s1, v51
	v_fma_f16 v52, v57, v53, -v52
	v_mul_f16_sdwa v53, v53, v57 dst_sel:DWORD dst_unused:UNUSED_PAD src0_sel:DWORD src1_sel:WORD_1
	v_mul_f16_e32 v54, v51, v17
	v_mul_f16_e32 v17, v42, v17
	v_fma_f16 v38, v57, v38, v53
	v_fma_f16 v54, v42, v9, -v54
	v_fma_f16 v9, v51, v9, v17
	v_fma_f16 v17, v40, 2.0, -v42
	v_fma_f16 v42, v44, 2.0, -v51
	v_and_b32_e32 v53, 31, v58
	v_mul_f16_e32 v51, v42, v38
	v_lshl_add_u32 v53, v53, 2, 0
	v_fma_f16 v51, v17, v52, -v51
	v_mul_f16_e32 v17, v17, v38
	ds_read_b32 v53, v53 offset:7488
	v_fma_f16 v17, v42, v52, v17
	v_add_u32_e32 v42, v58, v19
	v_lshrrev_b32_e32 v52, 8, v42
	v_and_b32_e32 v55, 31, v42
	v_lshrrev_b32_e32 v56, 3, v42
	v_add_u32_e32 v42, v42, v19
	v_lshrrev_b32_e32 v38, 3, v58
	v_lshrrev_b32_e32 v57, 8, v42
	v_and_b32_e32 v58, 31, v42
	v_lshrrev_b32_e32 v69, 3, v42
	v_add_u32_e32 v42, v42, v19
	v_lshrrev_b32_e32 v75, 8, v42
	v_and_b32_e32 v38, 0x7c, v38
	v_and_b32_e32 v52, 0x7c, v52
	;; [unrolled: 1-line block ×6, first 2 shown]
	v_add_u32_e32 v38, s0, v38
	v_add_u32_e32 v52, s0, v52
	v_lshl_add_u32 v55, v55, 2, 0
	v_add_u32_e32 v56, s0, v56
	v_add_u32_e32 v57, s0, v57
	v_lshl_add_u32 v58, v58, 2, 0
	v_add_u32_e32 v69, s0, v69
	v_add_u32_e32 v75, s0, v75
	s_waitcnt lgkmcnt(0)
	v_lshrrev_b32_e32 v76, 16, v53
	ds_read_b32 v38, v38 offset:128
	ds_read_b32 v52, v52 offset:256
	;; [unrolled: 1-line block ×8, first 2 shown]
	s_waitcnt lgkmcnt(7)
	v_mul_f16_sdwa v77, v76, v38 dst_sel:DWORD dst_unused:UNUSED_PAD src0_sel:DWORD src1_sel:WORD_1
	v_fma_f16 v77, v53, v38, -v77
	v_mul_f16_sdwa v53, v53, v38 dst_sel:DWORD dst_unused:UNUSED_PAD src0_sel:DWORD src1_sel:WORD_1
	v_fma_f16 v38, v76, v38, v53
	v_mul_f16_sdwa v53, v38, v59 dst_sel:DWORD dst_unused:UNUSED_PAD src0_sel:DWORD src1_sel:WORD_1
	v_mul_f16_sdwa v76, v77, v59 dst_sel:DWORD dst_unused:UNUSED_PAD src0_sel:DWORD src1_sel:WORD_1
	v_fma_f16 v48, v48, 2.0, -v65
	v_fma_f16 v46, v46, 2.0, -v64
	v_fma_f16 v53, v59, v77, -v53
	v_fma_f16 v38, v59, v38, v76
	v_fma_f16 v50, v50, 2.0, -v61
	v_fma_f16 v47, v47, 2.0, -v67
	v_fma_f16 v59, v48, s2, v46
	v_fma_f16 v61, v68, 2.0, -v70
	v_fma_f16 v59, v47, s2, v59
	v_fma_f16 v47, v47, s2, v61
	v_fma_f16 v45, v45, 2.0, -v60
	v_fma_f16 v49, v49, 2.0, -v63
	v_fma_f16 v47, v48, s1, v47
	v_fma_f16 v48, v50, s2, v45
	v_fma_f16 v37, v37, 2.0, -v73
	v_fma_f16 v48, v49, s2, v48
	v_fma_f16 v49, v49, s2, v37
	;; [unrolled: 1-line block ×7, first 2 shown]
	v_mul_f16_e32 v65, v63, v7
	v_mul_f16_e32 v7, v50, v7
	v_fma_f16 v65, v50, v6, -v65
	v_fma_f16 v6, v63, v6, v7
	v_fma_f16 v7, v10, 2.0, -v11
	v_fma_f16 v10, v13, 2.0, -v29
	;; [unrolled: 1-line block ×8, first 2 shown]
	v_sub_f16_e32 v7, v12, v7
	v_sub_f16_e32 v10, v13, v10
	;; [unrolled: 1-line block ×5, first 2 shown]
	v_add_f16_e32 v22, v11, v8
	v_mul_f16_e32 v25, v22, v5
	v_mul_f16_e32 v5, v21, v5
	v_fma_f16 v25, v21, v3, -v25
	v_fma_f16 v29, v22, v3, v5
	v_fma_f16 v3, v60, 2.0, -v62
	v_fma_f16 v5, v64, 2.0, -v66
	;; [unrolled: 1-line block ×4, first 2 shown]
	v_fma_f16 v62, v5, s3, v3
	v_fma_f16 v62, v39, s7, v62
	;; [unrolled: 1-line block ×4, first 2 shown]
	v_mul_f16_e32 v39, v5, v4
	v_mul_f16_e32 v4, v62, v4
	v_fma_f16 v39, v62, v2, -v39
	v_fma_f16 v64, v5, v2, v4
	v_fma_f16 v2, v31, 2.0, -v40
	v_fma_f16 v4, v33, 2.0, -v41
	v_fma_f16 v31, v32, 2.0, -v43
	v_fma_f16 v15, v15, 2.0, -v44
	v_fma_f16 v32, v4, s2, v2
	v_fma_f16 v32, v31, s2, v32
	;; [unrolled: 1-line block ×4, first 2 shown]
	v_mul_f16_e32 v31, v4, v30
	v_mul_f16_e32 v30, v32, v30
	v_fma_f16 v31, v32, v26, -v31
	v_fma_f16 v26, v4, v26, v30
	v_fma_f16 v30, v46, 2.0, -v59
	v_fma_f16 v40, v45, 2.0, -v48
	;; [unrolled: 1-line block ×3, first 2 shown]
	v_fma_f16 v41, v30, s7, v40
	v_fma_f16 v37, v37, 2.0, -v49
	v_fma_f16 v41, v33, s3, v41
	v_fma_f16 v33, v33, s7, v37
	s_mov_b32 s1, 0x2302303
	v_fma_f16 v30, v30, s4, v33
	v_fma_f16 v8, v16, 2.0, -v8
	v_fma_f16 v10, v13, 2.0, -v10
	;; [unrolled: 1-line block ×4, first 2 shown]
	v_mul_hi_u32 v0, v0, s1
	v_mul_f16_e32 v33, v30, v27
	v_mul_f16_e32 v27, v41, v27
	v_sub_f16_e32 v8, v12, v8
	v_sub_f16_e32 v10, v13, v10
	v_mul_u32_u24_e32 v0, 0xd0, v0
	v_fma_f16 v33, v41, v24, -v33
	v_fma_f16 v24, v30, v24, v27
	v_mul_f16_e32 v14, v10, v28
	v_mul_f16_e32 v16, v8, v28
	v_or_b32_e32 v27, v0, v1
	v_fma_f16 v0, v49, 2.0, -v63
	v_fma_f16 v14, v8, v23, -v14
	v_fma_f16 v16, v10, v23, v16
	v_fma_f16 v23, v48, 2.0, -v50
	v_mul_f16_e32 v28, v0, v38
	v_fma_f16 v28, v23, v53, -v28
	v_mul_f16_e32 v23, v23, v38
	v_fma_f16 v23, v0, v53, v23
	v_fma_f16 v0, v7, 2.0, -v21
	s_waitcnt lgkmcnt(5)
	v_lshrrev_b32_e32 v7, 16, v55
	s_waitcnt lgkmcnt(4)
	v_mul_f16_sdwa v38, v55, v56 dst_sel:DWORD dst_unused:UNUSED_PAD src0_sel:DWORD src1_sel:WORD_1
	v_mul_f16_sdwa v21, v7, v56 dst_sel:DWORD dst_unused:UNUSED_PAD src0_sel:DWORD src1_sel:WORD_1
	v_fma_f16 v7, v7, v56, v38
	v_fma_f16 v21, v55, v56, -v21
	v_mul_f16_sdwa v38, v7, v52 dst_sel:DWORD dst_unused:UNUSED_PAD src0_sel:DWORD src1_sel:WORD_1
	v_fma_f16 v38, v52, v21, -v38
	v_mul_f16_sdwa v21, v21, v52 dst_sel:DWORD dst_unused:UNUSED_PAD src0_sel:DWORD src1_sel:WORD_1
	v_fma_f16 v11, v11, 2.0, -v22
	v_fma_f16 v7, v52, v7, v21
	v_mul_f16_e32 v21, v11, v7
	v_fma_f16 v21, v0, v38, -v21
	v_mul_f16_e32 v0, v0, v7
	v_fma_f16 v7, v11, v38, v0
	v_fma_f16 v0, v3, 2.0, -v62
	s_waitcnt lgkmcnt(2)
	v_lshrrev_b32_e32 v3, 16, v58
	s_waitcnt lgkmcnt(1)
	v_mul_f16_sdwa v22, v58, v69 dst_sel:DWORD dst_unused:UNUSED_PAD src0_sel:DWORD src1_sel:WORD_1
	v_mul_f16_sdwa v11, v3, v69 dst_sel:DWORD dst_unused:UNUSED_PAD src0_sel:DWORD src1_sel:WORD_1
	v_fma_f16 v3, v3, v69, v22
	v_fma_f16 v11, v58, v69, -v11
	v_mul_f16_sdwa v22, v3, v57 dst_sel:DWORD dst_unused:UNUSED_PAD src0_sel:DWORD src1_sel:WORD_1
	v_fma_f16 v22, v57, v11, -v22
	v_mul_f16_sdwa v11, v11, v57 dst_sel:DWORD dst_unused:UNUSED_PAD src0_sel:DWORD src1_sel:WORD_1
	v_fma_f16 v5, v60, 2.0, -v5
	v_fma_f16 v3, v57, v3, v11
	v_mul_f16_e32 v11, v5, v3
	v_fma_f16 v11, v0, v22, -v11
	v_mul_f16_e32 v0, v0, v3
	v_fma_f16 v22, v5, v22, v0
	v_add_u32_e32 v5, v42, v19
	v_mul_lo_u32 v1, v1, v20
	v_fma_f16 v0, v2, 2.0, -v32
	v_lshrrev_b32_e32 v3, 3, v42
	v_lshrrev_b32_e32 v19, 8, v5
	v_and_b32_e32 v32, 31, v5
	v_lshrrev_b32_e32 v5, 3, v5
	v_lshrrev_b32_e32 v20, 8, v1
	v_and_b32_e32 v38, 31, v1
	v_lshrrev_b32_e32 v1, 3, v1
	v_and_b32_e32 v2, 31, v42
	v_and_b32_e32 v3, 0x7c, v3
	;; [unrolled: 1-line block ×6, first 2 shown]
	v_lshl_add_u32 v2, v2, 2, 0
	v_add_u32_e32 v3, s0, v3
	v_add_u32_e32 v19, s0, v19
	v_lshl_add_u32 v32, v32, 2, 0
	v_add_u32_e32 v5, s0, v5
	v_add_u32_e32 v20, s0, v20
	v_lshl_add_u32 v38, v38, 2, 0
	v_add_u32_e32 v1, s0, v1
	ds_read_b32 v2, v2 offset:7488
	ds_read_b32 v3, v3 offset:128
	;; [unrolled: 1-line block ×8, first 2 shown]
	s_waitcnt lgkmcnt(7)
	v_lshrrev_b32_e32 v42, 16, v2
	s_waitcnt lgkmcnt(6)
	v_mul_f16_sdwa v43, v42, v3 dst_sel:DWORD dst_unused:UNUSED_PAD src0_sel:DWORD src1_sel:WORD_1
	v_fma_f16 v43, v2, v3, -v43
	v_mul_f16_sdwa v2, v2, v3 dst_sel:DWORD dst_unused:UNUSED_PAD src0_sel:DWORD src1_sel:WORD_1
	v_fma_f16 v2, v42, v3, v2
	v_fma_f16 v4, v15, 2.0, -v4
	v_mul_f16_sdwa v15, v43, v75 dst_sel:DWORD dst_unused:UNUSED_PAD src0_sel:DWORD src1_sel:WORD_1
	v_mul_f16_sdwa v3, v2, v75 dst_sel:DWORD dst_unused:UNUSED_PAD src0_sel:DWORD src1_sel:WORD_1
	v_fma_f16 v2, v75, v2, v15
	v_fma_f16 v3, v75, v43, -v3
	v_mul_f16_e32 v15, v4, v2
	v_fma_f16 v15, v0, v3, -v15
	v_mul_f16_e32 v0, v0, v2
	v_fma_f16 v42, v4, v3, v0
	s_waitcnt lgkmcnt(4)
	v_lshrrev_b32_e32 v0, 16, v32
	s_waitcnt lgkmcnt(3)
	v_mul_f16_sdwa v3, v32, v5 dst_sel:DWORD dst_unused:UNUSED_PAD src0_sel:DWORD src1_sel:WORD_1
	v_mul_f16_sdwa v2, v0, v5 dst_sel:DWORD dst_unused:UNUSED_PAD src0_sel:DWORD src1_sel:WORD_1
	v_fma_f16 v0, v0, v5, v3
	v_fma_f16 v2, v32, v5, -v2
	v_mul_f16_sdwa v3, v0, v19 dst_sel:DWORD dst_unused:UNUSED_PAD src0_sel:DWORD src1_sel:WORD_1
	v_fma_f16 v3, v19, v2, -v3
	v_mul_f16_sdwa v2, v2, v19 dst_sel:DWORD dst_unused:UNUSED_PAD src0_sel:DWORD src1_sel:WORD_1
	v_fma_f16 v4, v40, 2.0, -v41
	v_fma_f16 v0, v19, v0, v2
	v_fma_f16 v2, v37, 2.0, -v30
	v_mul_f16_e32 v5, v0, v2
	v_mul_f16_e32 v0, v0, v4
	v_fma_f16 v30, v3, v2, v0
	v_add_u32_e32 v0, s6, v18
	v_fma_f16 v19, v3, v4, -v5
	s_waitcnt lgkmcnt(0)
	v_mad_u64_u32 v[2:3], s[0:1], s12, v27, v[0:1]
	v_mov_b32_e32 v3, 0
	v_lshl_add_u64 v[4:5], v[2:3], 2, s[16:17]
	v_fma_f16 v2, v12, 2.0, -v8
	v_lshrrev_b32_e32 v8, 16, v38
	v_mul_f16_sdwa v12, v8, v1 dst_sel:DWORD dst_unused:UNUSED_PAD src0_sel:DWORD src1_sel:WORD_1
	v_mul_f16_sdwa v18, v38, v1 dst_sel:DWORD dst_unused:UNUSED_PAD src0_sel:DWORD src1_sel:WORD_1
	v_fma_f16 v12, v38, v1, -v12
	v_fma_f16 v1, v1, v8, v18
	v_mul_f16_sdwa v8, v20, v1 dst_sel:DWORD dst_unused:UNUSED_PAD src0_sel:WORD_1 src1_sel:DWORD
	v_fma_f16 v8, v20, v12, -v8
	v_mul_f16_sdwa v12, v20, v12 dst_sel:DWORD dst_unused:UNUSED_PAD src0_sel:WORD_1 src1_sel:DWORD
	v_fma_f16 v10, v13, 2.0, -v10
	v_fma_f16 v1, v20, v1, v12
	v_mul_f16_e32 v12, v10, v1
	v_mul_f16_e32 v1, v2, v1
	v_fma_f16 v12, v2, v8, -v12
	v_fma_f16 v1, v10, v8, v1
	v_pack_b32_f16 v1, v1, v12
	global_store_dword v[4:5], v1, off
	v_add_u32_e32 v1, 13, v27
	v_mad_u64_u32 v[4:5], s[0:1], s12, v1, v[0:1]
	v_mov_b32_e32 v5, v3
	v_lshl_add_u64 v[4:5], v[4:5], 2, s[16:17]
	v_pack_b32_f16 v1, v30, v19
	global_store_dword v[4:5], v1, off
	v_add_u32_e32 v1, 26, v27
	v_mad_u64_u32 v[4:5], s[0:1], s12, v1, v[0:1]
	v_mov_b32_e32 v5, v3
	v_lshl_add_u64 v[4:5], v[4:5], 2, s[16:17]
	;; [unrolled: 6-line block ×15, first 2 shown]
	v_pack_b32_f16 v2, v35, v34
	global_store_dword v[0:1], v2, off
.LBB0_42:
	s_endpgm
.LBB0_43:
	v_or_b32_e32 v13, 0xa0, v1
	v_mul_lo_u32 v13, s12, v13
	v_add3_u32 v16, s6, v18, v13
	v_mov_b32_e32 v17, 0
	v_lshl_add_u64 v[16:17], v[16:17], 2, s[16:17]
	global_load_dword v13, v[16:17], off
	s_or_b64 exec, exec, s[4:5]
	s_and_saveexec_b64 s[4:5], s[2:3]
	s_cbranch_execz .LBB0_36
.LBB0_44:
	v_add_u32_e32 v14, 0xb0, v1
	v_mul_lo_u32 v14, s12, v14
	v_add3_u32 v14, s6, v18, v14
	v_mov_b32_e32 v15, 0
	v_lshl_add_u64 v[14:15], v[14:15], 2, s[16:17]
	global_load_dword v14, v[14:15], off
	s_or_b64 exec, exec, s[4:5]
	v_mov_b32_e32 v15, 0
	s_and_saveexec_b64 s[4:5], s[2:3]
	s_cbranch_execnz .LBB0_37
	s_branch .LBB0_38
	.section	.rodata,"a",@progbits
	.p2align	6, 0x0
	.amdhsa_kernel fft_rtc_back_len208_factors_13_16_wgs_144_tpt_16_half_ip_CI_sbcc_twdbase5_3step_dirReg_intrinsicReadWrite
		.amdhsa_group_segment_fixed_size 0
		.amdhsa_private_segment_fixed_size 0
		.amdhsa_kernarg_size 96
		.amdhsa_user_sgpr_count 2
		.amdhsa_user_sgpr_dispatch_ptr 0
		.amdhsa_user_sgpr_queue_ptr 0
		.amdhsa_user_sgpr_kernarg_segment_ptr 1
		.amdhsa_user_sgpr_dispatch_id 0
		.amdhsa_user_sgpr_kernarg_preload_length 0
		.amdhsa_user_sgpr_kernarg_preload_offset 0
		.amdhsa_user_sgpr_private_segment_size 0
		.amdhsa_uses_dynamic_stack 0
		.amdhsa_enable_private_segment 0
		.amdhsa_system_sgpr_workgroup_id_x 1
		.amdhsa_system_sgpr_workgroup_id_y 0
		.amdhsa_system_sgpr_workgroup_id_z 0
		.amdhsa_system_sgpr_workgroup_info 0
		.amdhsa_system_vgpr_workitem_id 0
		.amdhsa_next_free_vgpr 78
		.amdhsa_next_free_sgpr 41
		.amdhsa_accum_offset 80
		.amdhsa_reserve_vcc 1
		.amdhsa_float_round_mode_32 0
		.amdhsa_float_round_mode_16_64 0
		.amdhsa_float_denorm_mode_32 3
		.amdhsa_float_denorm_mode_16_64 3
		.amdhsa_dx10_clamp 1
		.amdhsa_ieee_mode 1
		.amdhsa_fp16_overflow 0
		.amdhsa_tg_split 0
		.amdhsa_exception_fp_ieee_invalid_op 0
		.amdhsa_exception_fp_denorm_src 0
		.amdhsa_exception_fp_ieee_div_zero 0
		.amdhsa_exception_fp_ieee_overflow 0
		.amdhsa_exception_fp_ieee_underflow 0
		.amdhsa_exception_fp_ieee_inexact 0
		.amdhsa_exception_int_div_zero 0
	.end_amdhsa_kernel
	.text
.Lfunc_end0:
	.size	fft_rtc_back_len208_factors_13_16_wgs_144_tpt_16_half_ip_CI_sbcc_twdbase5_3step_dirReg_intrinsicReadWrite, .Lfunc_end0-fft_rtc_back_len208_factors_13_16_wgs_144_tpt_16_half_ip_CI_sbcc_twdbase5_3step_dirReg_intrinsicReadWrite
                                        ; -- End function
	.section	.AMDGPU.csdata,"",@progbits
; Kernel info:
; codeLenInByte = 10556
; NumSgprs: 47
; NumVgprs: 78
; NumAgprs: 0
; TotalNumVgprs: 78
; ScratchSize: 0
; MemoryBound: 0
; FloatMode: 240
; IeeeMode: 1
; LDSByteSize: 0 bytes/workgroup (compile time only)
; SGPRBlocks: 5
; VGPRBlocks: 9
; NumSGPRsForWavesPerEU: 47
; NumVGPRsForWavesPerEU: 78
; AccumOffset: 80
; Occupancy: 6
; WaveLimiterHint : 1
; COMPUTE_PGM_RSRC2:SCRATCH_EN: 0
; COMPUTE_PGM_RSRC2:USER_SGPR: 2
; COMPUTE_PGM_RSRC2:TRAP_HANDLER: 0
; COMPUTE_PGM_RSRC2:TGID_X_EN: 1
; COMPUTE_PGM_RSRC2:TGID_Y_EN: 0
; COMPUTE_PGM_RSRC2:TGID_Z_EN: 0
; COMPUTE_PGM_RSRC2:TIDIG_COMP_CNT: 0
; COMPUTE_PGM_RSRC3_GFX90A:ACCUM_OFFSET: 19
; COMPUTE_PGM_RSRC3_GFX90A:TG_SPLIT: 0
	.text
	.p2alignl 6, 3212836864
	.fill 256, 4, 3212836864
	.type	__hip_cuid_80049632dda56d20,@object ; @__hip_cuid_80049632dda56d20
	.section	.bss,"aw",@nobits
	.globl	__hip_cuid_80049632dda56d20
__hip_cuid_80049632dda56d20:
	.byte	0                               ; 0x0
	.size	__hip_cuid_80049632dda56d20, 1

	.ident	"AMD clang version 19.0.0git (https://github.com/RadeonOpenCompute/llvm-project roc-6.4.0 25133 c7fe45cf4b819c5991fe208aaa96edf142730f1d)"
	.section	".note.GNU-stack","",@progbits
	.addrsig
	.addrsig_sym __hip_cuid_80049632dda56d20
	.amdgpu_metadata
---
amdhsa.kernels:
  - .agpr_count:     0
    .args:
      - .actual_access:  read_only
        .address_space:  global
        .offset:         0
        .size:           8
        .value_kind:     global_buffer
      - .address_space:  global
        .offset:         8
        .size:           8
        .value_kind:     global_buffer
      - .offset:         16
        .size:           8
        .value_kind:     by_value
      - .actual_access:  read_only
        .address_space:  global
        .offset:         24
        .size:           8
        .value_kind:     global_buffer
      - .actual_access:  read_only
        .address_space:  global
        .offset:         32
        .size:           8
        .value_kind:     global_buffer
      - .offset:         40
        .size:           8
        .value_kind:     by_value
      - .actual_access:  read_only
        .address_space:  global
        .offset:         48
        .size:           8
        .value_kind:     global_buffer
      - .actual_access:  read_only
        .address_space:  global
        .offset:         56
        .size:           8
        .value_kind:     global_buffer
      - .offset:         64
        .size:           4
        .value_kind:     by_value
      - .actual_access:  read_only
        .address_space:  global
        .offset:         72
        .size:           8
        .value_kind:     global_buffer
      - .actual_access:  read_only
        .address_space:  global
        .offset:         80
        .size:           8
        .value_kind:     global_buffer
      - .address_space:  global
        .offset:         88
        .size:           8
        .value_kind:     global_buffer
    .group_segment_fixed_size: 0
    .kernarg_segment_align: 8
    .kernarg_segment_size: 96
    .language:       OpenCL C
    .language_version:
      - 2
      - 0
    .max_flat_workgroup_size: 144
    .name:           fft_rtc_back_len208_factors_13_16_wgs_144_tpt_16_half_ip_CI_sbcc_twdbase5_3step_dirReg_intrinsicReadWrite
    .private_segment_fixed_size: 0
    .sgpr_count:     47
    .sgpr_spill_count: 0
    .symbol:         fft_rtc_back_len208_factors_13_16_wgs_144_tpt_16_half_ip_CI_sbcc_twdbase5_3step_dirReg_intrinsicReadWrite.kd
    .uniform_work_group_size: 1
    .uses_dynamic_stack: false
    .vgpr_count:     78
    .vgpr_spill_count: 0
    .wavefront_size: 64
amdhsa.target:   amdgcn-amd-amdhsa--gfx950
amdhsa.version:
  - 1
  - 2
...

	.end_amdgpu_metadata
